;; amdgpu-corpus repo=ROCm/rocFFT kind=compiled arch=gfx1030 opt=O3
	.text
	.amdgcn_target "amdgcn-amd-amdhsa--gfx1030"
	.amdhsa_code_object_version 6
	.protected	bluestein_single_back_len3600_dim1_dp_op_CI_CI ; -- Begin function bluestein_single_back_len3600_dim1_dp_op_CI_CI
	.globl	bluestein_single_back_len3600_dim1_dp_op_CI_CI
	.p2align	8
	.type	bluestein_single_back_len3600_dim1_dp_op_CI_CI,@function
bluestein_single_back_len3600_dim1_dp_op_CI_CI: ; @bluestein_single_back_len3600_dim1_dp_op_CI_CI
; %bb.0:
	s_load_dwordx4 s[16:19], s[4:5], 0x28
	v_mul_u32_u24_e32 v1, 0x223, v0
	s_mov_b64 s[38:39], s[2:3]
	s_mov_b64 s[36:37], s[0:1]
	v_mov_b32_e32 v5, 0
	s_add_u32 s36, s36, s7
	v_lshrrev_b32_e32 v1, 16, v1
	s_addc_u32 s37, s37, 0
	s_mov_b32 s0, exec_lo
	v_add_nc_u32_e32 v4, s6, v1
	s_waitcnt lgkmcnt(0)
	v_cmpx_gt_u64_e64 s[16:17], v[4:5]
	s_cbranch_execz .LBB0_2
; %bb.1:
	v_mul_lo_u16 v1, 0x78, v1
	s_clause 0x1
	s_load_dwordx4 s[0:3], s[4:5], 0x18
	s_load_dwordx4 s[8:11], s[4:5], 0x0
	v_mov_b32_e32 v6, v4
	s_mov_b32 s17, 0xbfee6f0e
	s_mov_b32 s22, 0x9b97f4a8
	v_sub_nc_u16 v130, v0, v1
	s_mov_b32 s23, 0x3fe9e377
	v_mov_b32_e32 v10, v6
	s_mov_b32 s21, 0xbfe9e377
	s_mov_b32 s20, s22
	v_and_b32_e32 v255, 0xffff, v130
	s_mov_b32 s27, 0xbfebb67a
	s_load_dwordx2 s[4:5], s[4:5], 0x38
	v_or_b32_e32 v20, 0x780, v255
	v_lshlrev_b32_e32 v52, 4, v255
	s_waitcnt lgkmcnt(0)
	s_load_dwordx4 s[12:15], s[0:1], 0x0
	v_lshlrev_b32_e32 v18, 4, v20
	global_load_dwordx4 v[209:212], v52, s[8:9]
	buffer_store_dword v20, off, s[36:39], 0 ; 4-byte Folded Spill
	v_add_co_u32 v91, s0, s8, v52
	buffer_store_dword v18, off, s[36:39], 0 offset:492 ; 4-byte Folded Spill
	buffer_store_dword v10, off, s[36:39], 0 offset:4 ; 4-byte Folded Spill
	;; [unrolled: 1-line block ×3, first 2 shown]
	v_add_co_ci_u32_e64 v92, null, s9, 0, s0
	v_add_co_u32 v0, vcc_lo, 0x1000, v91
	global_load_dwordx4 v[95:98], v18, s[8:9]
	v_add_co_ci_u32_e32 v1, vcc_lo, 0, v92, vcc_lo
	v_add_co_u32 v2, vcc_lo, 0x2800, v91
	v_add_co_ci_u32_e32 v3, vcc_lo, 0, v92, vcc_lo
	global_load_dwordx4 v[111:114], v[0:1], off offset:1664
	s_waitcnt lgkmcnt(0)
	v_mad_u64_u32 v[4:5], null, s14, v6, 0
	global_load_dwordx4 v[123:126], v[2:3], off offset:1280
	v_mad_u64_u32 v[6:7], null, s12, v255, 0
	v_mad_u64_u32 v[8:9], null, s12, v20, 0
	v_add_co_u32 v12, vcc_lo, 0x4000, v91
	v_add_co_ci_u32_e32 v13, vcc_lo, 0, v92, vcc_lo
	v_add_co_u32 v14, vcc_lo, 0x5800, v91
	v_mad_u64_u32 v[18:19], null, s13, v255, v[7:8]
	v_add_co_ci_u32_e32 v15, vcc_lo, 0, v92, vcc_lo
	v_add_co_u32 v16, vcc_lo, 0x7000, v91
	v_add_co_ci_u32_e32 v17, vcc_lo, 0, v92, vcc_lo
	v_mov_b32_e32 v7, v18
	s_mul_i32 s0, s13, 0x1680
	s_mul_hi_u32 s6, s12, 0x1680
	s_mul_i32 s1, s12, 0x1680
	s_add_u32 s28, s8, 0xe100
	s_addc_u32 s29, s9, 0
	s_add_i32 s0, s6, s0
	s_mul_i32 s6, s13, 0xffff3d00
	s_sub_i32 s6, s6, s12
	v_mad_u64_u32 v[10:11], null, s15, v10, v[5:6]
	v_mov_b32_e32 v5, v9
	s_mov_b32 s14, 0x134454ff
	s_mov_b32 s15, 0x3fee6f0e
	;; [unrolled: 1-line block ×3, first 2 shown]
	s_waitcnt vmcnt(2)
	v_mov_b32_e32 v220, v98
	v_mad_u64_u32 v[0:1], null, s13, v20, v[5:6]
	v_mov_b32_e32 v5, v10
	v_mov_b32_e32 v219, v97
	;; [unrolled: 1-line block ×4, first 2 shown]
	v_lshlrev_b64 v[1:2], 4, v[4:5]
	v_mov_b32_e32 v9, v0
	v_lshlrev_b64 v[3:4], 4, v[6:7]
	s_waitcnt vmcnt(0)
	v_mov_b32_e32 v252, v126
	v_mov_b32_e32 v251, v125
	;; [unrolled: 1-line block ×3, first 2 shown]
	v_add_co_u32 v7, vcc_lo, s18, v1
	v_add_co_ci_u32_e32 v2, vcc_lo, s19, v2, vcc_lo
	v_lshlrev_b64 v[0:1], 4, v[8:9]
	v_add_co_u32 v5, vcc_lo, v7, v3
	v_add_co_ci_u32_e32 v6, vcc_lo, v2, v4, vcc_lo
	v_mov_b32_e32 v249, v123
	v_add_co_u32 v7, vcc_lo, v7, v0
	v_add_co_ci_u32_e32 v8, vcc_lo, v2, v1, vcc_lo
	global_load_dwordx4 v[0:3], v[5:6], off
	v_add_co_u32 v4, vcc_lo, v5, s1
	global_load_dwordx4 v[8:11], v[7:8], off
	v_add_co_ci_u32_e32 v5, vcc_lo, s0, v6, vcc_lo
	v_add_co_u32 v18, vcc_lo, v4, s1
	s_mov_b32 s19, 0xbfd3c6ef
	v_add_co_ci_u32_e32 v19, vcc_lo, s0, v5, vcc_lo
	global_load_dwordx4 v[4:7], v[4:5], off
	v_add_co_u32 v24, vcc_lo, v18, s1
	global_load_dwordx4 v[20:23], v[18:19], off
	v_add_co_ci_u32_e32 v25, vcc_lo, s0, v19, vcc_lo
	v_add_co_u32 v18, vcc_lo, v24, s1
	v_add_co_ci_u32_e32 v19, vcc_lo, s0, v25, vcc_lo
	v_add_co_u32 v32, vcc_lo, 0x8000, v91
	v_add_co_ci_u32_e32 v33, vcc_lo, 0, v92, vcc_lo
	global_load_dwordx4 v[119:122], v[12:13], off offset:896
	global_load_dwordx4 v[28:31], v[24:25], off
	global_load_dwordx4 v[185:188], v[14:15], off offset:512
	global_load_dwordx4 v[24:27], v[18:19], off
	v_add_co_u32 v12, vcc_lo, v18, s1
	v_add_co_ci_u32_e32 v13, vcc_lo, s0, v19, vcc_lo
	global_load_dwordx4 v[177:180], v[16:17], off offset:128
	v_add_co_u32 v53, vcc_lo, v12, s1
	v_add_co_ci_u32_e32 v54, vcc_lo, s0, v13, vcc_lo
	global_load_dwordx4 v[16:19], v[12:13], off
	global_load_dwordx4 v[181:184], v[32:33], off offset:1792
	global_load_dwordx4 v[12:15], v[53:54], off
	global_load_dwordx4 v[133:136], v52, s[8:9] offset:1920
	v_add_co_u32 v32, vcc_lo, 0x9800, v91
	v_add_co_ci_u32_e32 v33, vcc_lo, 0, v92, vcc_lo
	v_add_co_u32 v34, vcc_lo, 0xb000, v91
	v_add_co_ci_u32_e32 v35, vcc_lo, 0, v92, vcc_lo
	v_add_co_u32 v36, vcc_lo, 0xc800, v91
	v_add_co_ci_u32_e32 v37, vcc_lo, 0, v92, vcc_lo
	v_add_co_u32 v38, vcc_lo, 0x1800, v91
	v_add_co_ci_u32_e32 v39, vcc_lo, 0, v92, vcc_lo
	v_add_co_u32 v40, vcc_lo, 0x3000, v91
	v_add_co_ci_u32_e32 v41, vcc_lo, 0, v92, vcc_lo
	v_add_co_u32 v42, vcc_lo, 0x4800, v91
	v_add_co_ci_u32_e32 v43, vcc_lo, 0, v92, vcc_lo
	v_add_co_u32 v44, vcc_lo, 0x6000, v91
	v_add_co_ci_u32_e32 v45, vcc_lo, 0, v92, vcc_lo
	v_add_co_u32 v46, vcc_lo, 0x8800, v91
	v_add_co_ci_u32_e32 v47, vcc_lo, 0, v92, vcc_lo
	v_add_co_u32 v48, vcc_lo, 0xa000, v91
	v_add_co_ci_u32_e32 v49, vcc_lo, 0, v92, vcc_lo
	v_add_co_u32 v50, vcc_lo, 0xb800, v91
	v_add_co_ci_u32_e32 v51, vcc_lo, 0, v92, vcc_lo
	v_add_co_u32 v53, vcc_lo, v53, s1
	v_add_co_ci_u32_e32 v54, vcc_lo, s0, v54, vcc_lo
	v_add_co_u32 v55, vcc_lo, 0xd000, v91
	v_add_co_ci_u32_e32 v56, vcc_lo, 0, v92, vcc_lo
	v_add_co_u32 v57, vcc_lo, v53, s1
	v_add_co_ci_u32_e32 v58, vcc_lo, s0, v54, vcc_lo
	v_add_co_u32 v59, vcc_lo, 0x800, v91
	v_add_co_ci_u32_e32 v60, vcc_lo, 0, v92, vcc_lo
	v_add_co_u32 v61, vcc_lo, v57, s1
	v_add_co_ci_u32_e32 v62, vcc_lo, s0, v58, vcc_lo
	v_add_co_u32 v63, vcc_lo, 0x2000, v91
	v_add_co_ci_u32_e32 v64, vcc_lo, 0, v92, vcc_lo
	v_mad_u64_u32 v[65:66], null, 0xffff3d00, s12, v[61:62]
	v_add_co_u32 v67, vcc_lo, 0x3800, v91
	v_add_co_ci_u32_e32 v68, vcc_lo, 0, v92, vcc_lo
	v_add_co_u32 v69, vcc_lo, 0x5000, v91
	v_add_co_ci_u32_e32 v70, vcc_lo, 0, v92, vcc_lo
	v_add_nc_u32_e32 v66, s6, v66
	v_add_co_u32 v71, vcc_lo, 0x6800, v91
	v_add_co_ci_u32_e32 v72, vcc_lo, 0, v92, vcc_lo
	v_add_co_u32 v73, vcc_lo, v65, s1
	v_add_co_ci_u32_e32 v74, vcc_lo, s0, v66, vcc_lo
	;; [unrolled: 2-line block ×8, first 2 shown]
	s_clause 0x5
	global_load_dwordx4 v[237:240], v[32:33], off offset:1408
	global_load_dwordx4 v[233:236], v[34:35], off offset:1024
	;; [unrolled: 1-line block ×6, first 2 shown]
	v_add_co_u32 v87, vcc_lo, 0xc000, v91
	v_mad_u64_u32 v[89:90], null, 0x2d00, s12, v[85:86]
	v_add_co_ci_u32_e32 v88, vcc_lo, 0, v92, vcc_lo
	v_add_co_u32 v91, vcc_lo, 0xd800, v91
	v_add_co_ci_u32_e32 v92, vcc_lo, 0, v92, vcc_lo
	v_mov_b32_e32 v32, v90
	s_clause 0x9
	global_load_dwordx4 v[213:216], v[44:45], off offset:384
	global_load_dwordx4 v[201:204], v[46:47], off offset:1664
	;; [unrolled: 1-line block ×10, first 2 shown]
	v_add_co_u32 v69, vcc_lo, v89, s1
	v_mad_u64_u32 v[32:33], null, 0x2d00, s13, v[32:33]
	s_clause 0x1
	global_load_dwordx4 v[145:148], v[75:76], off offset:1920
	global_load_dwordx4 v[141:144], v[79:80], off offset:1536
	s_mov_b32 s8, 0x372fe950
	s_mov_b32 s9, 0x3fd3c6ef
	;; [unrolled: 1-line block ×4, first 2 shown]
	v_mov_b32_e32 v90, v32
	global_load_dwordx4 v[32:35], v[53:54], off
	s_clause 0x2
	global_load_dwordx4 v[165:168], v[83:84], off offset:1152
	global_load_dwordx4 v[161:164], v[87:88], off offset:768
	;; [unrolled: 1-line block ×3, first 2 shown]
	global_load_dwordx4 v[36:39], v[57:58], off
	global_load_dwordx4 v[40:43], v[61:62], off
	;; [unrolled: 1-line block ×7, first 2 shown]
	v_add_co_ci_u32_e32 v70, vcc_lo, s0, v90, vcc_lo
	v_add_co_u32 v75, vcc_lo, v69, s1
	global_load_dwordx4 v[65:68], v[89:90], off
	v_add_co_ci_u32_e32 v76, vcc_lo, s0, v70, vcc_lo
	v_add_co_u32 v79, vcc_lo, v75, s1
	v_add_co_ci_u32_e32 v80, vcc_lo, s0, v76, vcc_lo
	v_mad_u64_u32 v[83:84], null, 0xffff3d00, s12, v[79:80]
	v_add_nc_u32_e32 v84, s6, v84
	v_add_co_u32 v89, vcc_lo, v83, s1
	s_mov_b32 s6, 0x4755a5e
	s_mov_b32 s7, 0x3fe2cf23
	v_add_co_ci_u32_e32 v90, vcc_lo, s0, v84, vcc_lo
	global_load_dwordx4 v[69:72], v[69:70], off
	global_load_dwordx4 v[73:76], v[75:76], off
	;; [unrolled: 1-line block ×5, first 2 shown]
	v_add_co_u32 v89, vcc_lo, v89, s1
	v_add_co_ci_u32_e32 v90, vcc_lo, s0, v90, vcc_lo
	s_mov_b32 s12, s6
	v_add_co_u32 v93, vcc_lo, v89, s1
	v_add_co_ci_u32_e32 v94, vcc_lo, s0, v90, vcc_lo
	v_add_co_u32 v109, vcc_lo, v93, s1
	v_add_co_ci_u32_e32 v110, vcc_lo, s0, v94, vcc_lo
	global_load_dwordx4 v[89:92], v[89:90], off
	global_load_dwordx4 v[93:96], v[93:94], off
	s_waitcnt vmcnt(49)
	v_mul_f64 v[101:102], v[2:3], v[211:212]
	v_mul_f64 v[103:104], v[0:1], v[211:212]
	s_waitcnt vmcnt(48)
	v_mul_f64 v[105:106], v[10:11], v[97:98]
	v_mul_f64 v[107:108], v[8:9], v[97:98]
	v_mov_b32_e32 v97, v111
	v_mov_b32_e32 v100, v114
	;; [unrolled: 1-line block ×6, first 2 shown]
	s_waitcnt vmcnt(47)
	v_mul_f64 v[111:112], v[6:7], v[99:100]
	v_mul_f64 v[113:114], v[4:5], v[99:100]
	v_mov_b32_e32 v247, v99
	v_mov_b32_e32 v245, v97
	global_load_dwordx4 v[97:100], v[109:110], off
	buffer_store_dword v209, off, s[36:39], 0 offset:460 ; 4-byte Folded Spill
	buffer_store_dword v210, off, s[36:39], 0 offset:464 ; 4-byte Folded Spill
	;; [unrolled: 1-line block ×12, first 2 shown]
	s_waitcnt vmcnt(47)
	v_mul_f64 v[115:116], v[22:23], v[125:126]
	v_mul_f64 v[117:118], v[20:21], v[125:126]
	s_waitcnt vmcnt(46)
	v_mov_b32_e32 v126, v122
	v_add_co_u32 v109, vcc_lo, v109, s1
	v_mov_b32_e32 v125, v121
	v_mov_b32_e32 v124, v120
	v_mov_b32_e32 v123, v119
	v_add_co_ci_u32_e32 v110, vcc_lo, s0, v110, vcc_lo
	v_mov_b32_e32 v244, v126
	v_mov_b32_e32 v243, v125
	;; [unrolled: 1-line block ×4, first 2 shown]
	buffer_store_dword v249, off, s[36:39], 0 offset:444 ; 4-byte Folded Spill
	buffer_store_dword v250, off, s[36:39], 0 offset:448 ; 4-byte Folded Spill
	;; [unrolled: 1-line block ×8, first 2 shown]
	s_waitcnt vmcnt(45)
	v_mul_f64 v[119:120], v[30:31], v[125:126]
	v_mul_f64 v[121:122], v[28:29], v[125:126]
	s_waitcnt vmcnt(43)
	v_mul_f64 v[123:124], v[26:27], v[187:188]
	v_mul_f64 v[125:126], v[24:25], v[187:188]
	s_waitcnt vmcnt(41)
	v_mul_f64 v[127:128], v[18:19], v[179:180]
	s_waitcnt vmcnt(39)
	v_mul_f64 v[131:132], v[14:15], v[183:184]
	v_fma_f64 v[0:1], v[0:1], v[209:210], v[101:102]
	v_fma_f64 v[8:9], v[8:9], v[217:218], v[105:106]
	v_add_co_u32 v105, vcc_lo, v109, s1
	v_add_co_ci_u32_e32 v106, vcc_lo, s0, v110, vcc_lo
	v_fma_f64 v[6:7], v[6:7], v[245:246], -v[113:114]
	v_add_co_u32 v113, vcc_lo, v105, s1
	v_fma_f64 v[2:3], v[2:3], v[209:210], -v[103:104]
	global_load_dwordx4 v[101:104], v[109:110], off
	buffer_store_dword v185, off, s[36:39], 0 offset:396 ; 4-byte Folded Spill
	buffer_store_dword v186, off, s[36:39], 0 offset:400 ; 4-byte Folded Spill
	;; [unrolled: 1-line block ×4, first 2 shown]
	v_fma_f64 v[10:11], v[10:11], v[217:218], -v[107:108]
	v_fma_f64 v[4:5], v[4:5], v[245:246], v[111:112]
	v_mul_f64 v[111:112], v[16:17], v[179:180]
	v_add_co_ci_u32_e32 v114, vcc_lo, s0, v106, vcc_lo
	global_load_dwordx4 v[105:108], v[105:106], off
	buffer_store_dword v177, off, s[36:39], 0 offset:364 ; 4-byte Folded Spill
	buffer_store_dword v178, off, s[36:39], 0 offset:368 ; 4-byte Folded Spill
	;; [unrolled: 1-line block ×4, first 2 shown]
	v_fma_f64 v[20:21], v[20:21], v[249:250], v[115:116]
	v_add_co_u32 v115, vcc_lo, v113, s1
	v_add_co_ci_u32_e32 v116, vcc_lo, s0, v114, vcc_lo
	v_fma_f64 v[28:29], v[28:29], v[241:242], v[119:120]
	v_add_co_u32 v119, vcc_lo, v115, s1
	v_fma_f64 v[22:23], v[22:23], v[249:250], -v[117:118]
	v_mul_f64 v[117:118], v[12:13], v[183:184]
	v_add_co_ci_u32_e32 v120, vcc_lo, s0, v116, vcc_lo
	v_fma_f64 v[30:31], v[30:31], v[241:242], -v[121:122]
	s_waitcnt vmcnt(21)
	v_mul_f64 v[121:122], v[34:35], v[239:240]
	v_cmp_gt_u16_e32 vcc_lo, 0x64, v130
	v_fma_f64 v[24:25], v[24:25], v[185:186], v[123:124]
	v_mul_f64 v[123:124], v[32:33], v[239:240]
	v_fma_f64 v[26:27], v[26:27], v[185:186], -v[125:126]
	s_waitcnt vmcnt(17)
	v_mul_f64 v[125:126], v[38:39], v[235:236]
	v_fma_f64 v[18:19], v[18:19], v[177:178], -v[111:112]
	global_load_dwordx4 v[109:112], v[113:114], off
	global_load_dwordx4 v[113:116], v[115:116], off
	buffer_store_dword v181, off, s[36:39], 0 offset:380 ; 4-byte Folded Spill
	buffer_store_dword v182, off, s[36:39], 0 offset:384 ; 4-byte Folded Spill
	;; [unrolled: 1-line block ×4, first 2 shown]
	ds_write_b128 v52, v[0:3]
	ds_write_b128 v52, v[8:11] offset:30720
	ds_write_b128 v52, v[4:7] offset:5760
	v_fma_f64 v[16:17], v[16:17], v[177:178], v[127:128]
	v_mul_f64 v[127:128], v[36:37], v[235:236]
	s_waitcnt vmcnt(18)
	v_mul_f64 v[8:9], v[42:43], v[223:224]
	v_mul_f64 v[10:11], v[40:41], v[223:224]
	v_fma_f64 v[14:15], v[14:15], v[181:182], -v[117:118]
	global_load_dwordx4 v[117:120], v[119:120], off
	buffer_store_dword v237, off, s[36:39], 0 offset:412 ; 4-byte Folded Spill
	buffer_store_dword v238, off, s[36:39], 0 offset:416 ; 4-byte Folded Spill
	;; [unrolled: 1-line block ×4, first 2 shown]
	ds_write_b128 v52, v[20:23] offset:11520
	ds_write_b128 v52, v[28:31] offset:17280
	buffer_store_dword v233, off, s[36:39], 0 offset:348 ; 4-byte Folded Spill
	buffer_store_dword v234, off, s[36:39], 0 offset:352 ; 4-byte Folded Spill
	;; [unrolled: 1-line block ×4, first 2 shown]
	ds_write_b128 v52, v[24:27] offset:23040
	buffer_store_dword v221, off, s[36:39], 0 offset:332 ; 4-byte Folded Spill
	buffer_store_dword v222, off, s[36:39], 0 offset:336 ; 4-byte Folded Spill
	;; [unrolled: 1-line block ×4, first 2 shown]
	s_waitcnt vmcnt(16)
	v_mul_f64 v[28:29], v[55:56], v[227:228]
	v_mul_f64 v[30:31], v[53:54], v[227:228]
	v_fma_f64 v[12:13], v[12:13], v[181:182], v[131:132]
	v_fma_f64 v[0:1], v[32:33], v[237:238], v[121:122]
	v_fma_f64 v[2:3], v[34:35], v[237:238], -v[123:124]
	v_mul_f64 v[32:33], v[46:47], v[135:136]
	v_mul_f64 v[34:35], v[44:45], v[135:136]
	buffer_store_dword v133, off, s[36:39], 0 offset:284 ; 4-byte Folded Spill
	buffer_store_dword v134, off, s[36:39], 0 offset:288 ; 4-byte Folded Spill
	;; [unrolled: 1-line block ×4, first 2 shown]
	v_mul_f64 v[121:122], v[50:51], v[231:232]
	v_mul_f64 v[123:124], v[48:49], v[231:232]
	buffer_store_dword v229, off, s[36:39], 0 offset:300 ; 4-byte Folded Spill
	buffer_store_dword v230, off, s[36:39], 0 offset:304 ; 4-byte Folded Spill
	;; [unrolled: 1-line block ×4, first 2 shown]
	ds_write_b128 v52, v[16:19] offset:28800
	buffer_store_dword v225, off, s[36:39], 0 offset:316 ; 4-byte Folded Spill
	buffer_store_dword v226, off, s[36:39], 0 offset:320 ; 4-byte Folded Spill
	;; [unrolled: 1-line block ×4, first 2 shown]
	v_fma_f64 v[4:5], v[36:37], v[233:234], v[125:126]
	v_fma_f64 v[6:7], v[38:39], v[233:234], -v[127:128]
	s_waitcnt vmcnt(15)
	v_mul_f64 v[36:37], v[59:60], v[207:208]
	v_mul_f64 v[38:39], v[57:58], v[207:208]
	buffer_store_dword v205, off, s[36:39], 0 offset:252 ; 4-byte Folded Spill
	buffer_store_dword v206, off, s[36:39], 0 offset:256 ; 4-byte Folded Spill
	;; [unrolled: 1-line block ×4, first 2 shown]
	v_fma_f64 v[8:9], v[40:41], v[221:222], v[8:9]
	v_fma_f64 v[10:11], v[42:43], v[221:222], -v[10:11]
	s_waitcnt vmcnt(14)
	v_mul_f64 v[40:41], v[63:64], v[215:216]
	v_mul_f64 v[42:43], v[61:62], v[215:216]
	buffer_store_dword v213, off, s[36:39], 0 offset:268 ; 4-byte Folded Spill
	buffer_store_dword v214, off, s[36:39], 0 offset:272 ; 4-byte Folded Spill
	;; [unrolled: 1-line block ×4, first 2 shown]
	s_waitcnt vmcnt(10)
	v_mul_f64 v[125:126], v[79:80], v[191:192]
	v_mul_f64 v[127:128], v[77:78], v[191:192]
	v_fma_f64 v[20:21], v[44:45], v[133:134], v[32:33]
	v_fma_f64 v[22:23], v[46:47], v[133:134], -v[34:35]
	v_mul_f64 v[44:45], v[67:68], v[203:204]
	v_mul_f64 v[46:47], v[65:66], v[203:204]
	buffer_store_dword v201, off, s[36:39], 0 offset:204 ; 4-byte Folded Spill
	buffer_store_dword v202, off, s[36:39], 0 offset:208 ; 4-byte Folded Spill
	;; [unrolled: 1-line block ×4, first 2 shown]
	v_fma_f64 v[24:25], v[48:49], v[229:230], v[121:122]
	v_fma_f64 v[26:27], v[50:51], v[229:230], -v[123:124]
	v_mul_f64 v[48:49], v[71:72], v[199:200]
	v_mul_f64 v[50:51], v[69:70], v[199:200]
	buffer_store_dword v197, off, s[36:39], 0 offset:220 ; 4-byte Folded Spill
	buffer_store_dword v198, off, s[36:39], 0 offset:224 ; 4-byte Folded Spill
	;; [unrolled: 1-line block ×4, first 2 shown]
	v_mul_f64 v[121:122], v[75:76], v[195:196]
	v_mul_f64 v[123:124], v[73:74], v[195:196]
	buffer_store_dword v193, off, s[36:39], 0 offset:188 ; 4-byte Folded Spill
	buffer_store_dword v194, off, s[36:39], 0 offset:192 ; 4-byte Folded Spill
	;; [unrolled: 1-line block ×8, first 2 shown]
	v_fma_f64 v[16:17], v[53:54], v[225:226], v[28:29]
	v_fma_f64 v[18:19], v[55:56], v[225:226], -v[30:31]
	s_waitcnt vmcnt(9)
	v_mul_f64 v[53:54], v[83:84], v[175:176]
	v_mul_f64 v[55:56], v[81:82], v[175:176]
	buffer_store_dword v173, off, s[36:39], 0 offset:28 ; 4-byte Folded Spill
	buffer_store_dword v174, off, s[36:39], 0 offset:32 ; 4-byte Folded Spill
	;; [unrolled: 1-line block ×4, first 2 shown]
	v_fma_f64 v[28:29], v[57:58], v[205:206], v[36:37]
	v_fma_f64 v[30:31], v[59:60], v[205:206], -v[38:39]
	s_waitcnt vmcnt(8)
	v_mul_f64 v[57:58], v[87:88], v[171:172]
	v_mul_f64 v[59:60], v[85:86], v[171:172]
	buffer_store_dword v169, off, s[36:39], 0 offset:44 ; 4-byte Folded Spill
	buffer_store_dword v170, off, s[36:39], 0 offset:48 ; 4-byte Folded Spill
	buffer_store_dword v171, off, s[36:39], 0 offset:52 ; 4-byte Folded Spill
	buffer_store_dword v172, off, s[36:39], 0 offset:56 ; 4-byte Folded Spill
	v_fma_f64 v[32:33], v[61:62], v[213:214], v[40:41]
	v_fma_f64 v[34:35], v[63:64], v[213:214], -v[42:43]
	s_waitcnt vmcnt(7)
	v_mul_f64 v[61:62], v[91:92], v[159:160]
	v_mul_f64 v[63:64], v[89:90], v[159:160]
	s_load_dwordx4 s[0:3], s[2:3], 0x0
	ds_write_b128 v52, v[12:15] offset:34560
	buffer_store_dword v157, off, s[36:39], 0 offset:76 ; 4-byte Folded Spill
	buffer_store_dword v158, off, s[36:39], 0 offset:80 ; 4-byte Folded Spill
	buffer_store_dword v159, off, s[36:39], 0 offset:84 ; 4-byte Folded Spill
	buffer_store_dword v160, off, s[36:39], 0 offset:88 ; 4-byte Folded Spill
	v_fma_f64 v[36:37], v[65:66], v[201:202], v[44:45]
	v_fma_f64 v[38:39], v[67:68], v[201:202], -v[46:47]
	s_waitcnt vmcnt(6)
	v_mul_f64 v[65:66], v[95:96], v[155:156]
	v_mul_f64 v[67:68], v[93:94], v[155:156]
	buffer_store_dword v153, off, s[36:39], 0 offset:92 ; 4-byte Folded Spill
	buffer_store_dword v154, off, s[36:39], 0 offset:96 ; 4-byte Folded Spill
	buffer_store_dword v155, off, s[36:39], 0 offset:100 ; 4-byte Folded Spill
	buffer_store_dword v156, off, s[36:39], 0 offset:104 ; 4-byte Folded Spill
	v_fma_f64 v[40:41], v[69:70], v[197:198], v[48:49]
	v_fma_f64 v[42:43], v[71:72], v[197:198], -v[50:51]
	s_waitcnt vmcnt(5)
	v_mul_f64 v[69:70], v[99:100], v[151:152]
	v_mul_f64 v[71:72], v[97:98], v[151:152]
	;; [unrolled: 9-line block ×6, first 2 shown]
	buffer_store_dword v161, off, s[36:39], 0 offset:156 ; 4-byte Folded Spill
	buffer_store_dword v162, off, s[36:39], 0 offset:160 ; 4-byte Folded Spill
	;; [unrolled: 1-line block ×4, first 2 shown]
	s_waitcnt vmcnt(0)
	v_mul_f64 v[121:122], v[119:120], v[139:140]
	v_mul_f64 v[123:124], v[117:118], v[139:140]
	buffer_store_dword v137, off, s[36:39], 0 offset:172 ; 4-byte Folded Spill
	buffer_store_dword v138, off, s[36:39], 0 offset:176 ; 4-byte Folded Spill
	;; [unrolled: 1-line block ×4, first 2 shown]
	v_fma_f64 v[12:13], v[89:90], v[157:158], v[61:62]
	v_fma_f64 v[14:15], v[91:92], v[157:158], -v[63:64]
	v_fma_f64 v[61:62], v[93:94], v[153:154], v[65:66]
	v_fma_f64 v[63:64], v[95:96], v[153:154], -v[67:68]
	;; [unrolled: 2-line block ×8, first 2 shown]
	ds_write_b128 v52, v[0:3] offset:40320
	ds_write_b128 v52, v[4:7] offset:46080
	;; [unrolled: 1-line block ×22, first 2 shown]
	s_waitcnt lgkmcnt(0)
	s_waitcnt_vscnt null, 0x0
	s_barrier
	buffer_gl0_inv
	ds_read_b128 v[16:19], v52 offset:11520
	ds_read_b128 v[8:11], v52
	ds_read_b128 v[4:7], v52 offset:5760
	ds_read_b128 v[24:27], v52 offset:17280
	;; [unrolled: 1-line block ×14, first 2 shown]
	s_waitcnt lgkmcnt(14)
	v_add_f64 v[20:21], v[8:9], v[16:17]
	v_add_f64 v[22:23], v[10:11], v[18:19]
	s_waitcnt lgkmcnt(12)
	v_add_f64 v[53:54], v[4:5], v[24:25]
	v_add_f64 v[64:65], v[6:7], v[26:27]
	s_waitcnt lgkmcnt(9)
	v_add_f64 v[124:125], v[16:17], -v[28:29]
	s_waitcnt lgkmcnt(4)
	v_add_f64 v[128:129], v[16:17], v[40:41]
	v_add_f64 v[131:132], v[28:29], -v[16:17]
	v_add_f64 v[137:138], v[16:17], -v[40:41]
	v_add_f64 v[90:91], v[28:29], v[36:37]
	v_add_f64 v[126:127], v[40:41], -v[36:37]
	v_add_f64 v[133:134], v[36:37], -v[40:41]
	;; [unrolled: 1-line block ×3, first 2 shown]
	v_add_f64 v[143:144], v[18:19], v[42:43]
	v_add_f64 v[149:150], v[24:25], -v[32:33]
	v_add_f64 v[155:156], v[32:33], -v[24:25]
	v_add_f64 v[135:136], v[30:31], v[38:39]
	v_add_f64 v[141:142], v[42:43], -v[38:39]
	s_waitcnt lgkmcnt(2)
	v_add_f64 v[92:93], v[46:47], -v[50:51]
	v_add_f64 v[165:166], v[12:13], -v[44:45]
	;; [unrolled: 1-line block ×3, first 2 shown]
	v_add_f64 v[169:170], v[46:47], v[50:51]
	v_add_f64 v[94:95], v[44:45], -v[48:49]
	v_add_f64 v[84:85], v[20:21], v[28:29]
	v_add_f64 v[86:87], v[22:23], v[30:31]
	;; [unrolled: 1-line block ×4, first 2 shown]
	ds_read_b128 v[76:79], v52 offset:40320
	ds_read_b128 v[64:67], v52 offset:38400
	;; [unrolled: 1-line block ×4, first 2 shown]
	v_add_f64 v[22:23], v[18:19], -v[42:43]
	v_add_f64 v[20:21], v[30:31], -v[38:39]
	s_waitcnt lgkmcnt(5)
	v_add_f64 v[96:97], v[14:15], -v[62:63]
	v_add_f64 v[171:172], v[12:13], v[60:61]
	v_add_f64 v[98:99], v[12:13], -v[60:61]
	v_add_f64 v[173:174], v[14:15], v[62:63]
	v_add_f64 v[175:176], v[60:61], -v[48:49]
	v_add_f64 v[177:178], v[48:49], -v[60:61]
	;; [unrolled: 1-line block ×4, first 2 shown]
	v_fma_f64 v[169:170], v[169:170], -0.5, v[2:3]
	s_waitcnt lgkmcnt(3)
	v_add_f64 v[147:148], v[34:35], -v[78:79]
	v_add_f64 v[84:85], v[84:85], v[36:37]
	v_add_f64 v[36:37], v[28:29], -v[36:37]
	v_add_f64 v[16:17], v[53:54], v[76:77]
	v_add_f64 v[28:29], v[88:89], v[78:79]
	v_add_f64 v[53:54], v[30:31], -v[18:19]
	v_add_f64 v[88:89], v[32:33], v[76:77]
	s_waitcnt lgkmcnt(1)
	v_add_f64 v[151:152], v[80:81], -v[76:77]
	v_add_f64 v[157:158], v[34:35], v[78:79]
	v_add_f64 v[32:33], v[32:33], -v[76:77]
	v_add_f64 v[161:162], v[76:77], -v[80:81]
	;; [unrolled: 1-line block ×4, first 2 shown]
	v_add_f64 v[18:19], v[2:3], v[14:15]
	v_add_f64 v[86:87], v[86:87], v[38:39]
	v_add_f64 v[38:39], v[38:39], -v[42:43]
	v_add_f64 v[145:146], v[26:27], -v[82:83]
	v_add_f64 v[153:154], v[24:25], v[80:81]
	v_add_f64 v[159:160], v[26:27], v[82:83]
	;; [unrolled: 1-line block ×3, first 2 shown]
	v_add_f64 v[84:85], v[26:27], -v[34:35]
	v_add_f64 v[78:79], v[16:17], v[80:81]
	v_add_f64 v[16:17], v[0:1], v[12:13]
	v_add_f64 v[34:35], v[34:35], -v[26:27]
	v_add_f64 v[18:19], v[18:19], v[46:47]
	v_add_f64 v[42:43], v[86:87], v[42:43]
	;; [unrolled: 3-line block ×3, first 2 shown]
	v_add_f64 v[84:85], v[84:85], v[76:77]
	v_add_f64 v[16:17], v[16:17], v[44:45]
	v_add_f64 v[44:45], v[14:15], -v[46:47]
	v_add_f64 v[46:47], v[46:47], -v[14:15]
	v_add_f64 v[34:35], v[34:35], v[163:164]
	v_add_f64 v[14:15], v[18:19], v[50:51]
	;; [unrolled: 1-line block ×5, first 2 shown]
	ds_read_b128 v[12:15], v52 offset:19200
	ds_read_b128 v[16:19], v52 offset:7680
	;; [unrolled: 1-line block ×6, first 2 shown]
	s_waitcnt lgkmcnt(4)
	v_add_f64 v[28:29], v[16:17], v[12:13]
	s_waitcnt lgkmcnt(1)
	v_add_f64 v[189:190], v[12:13], -v[24:25]
	v_add_f64 v[191:192], v[24:25], -v[12:13]
	;; [unrolled: 1-line block ×4, first 2 shown]
	s_waitcnt lgkmcnt(0)
	v_add_f64 v[163:164], v[110:111], -v[114:115]
	v_add_f64 v[48:49], v[28:29], v[24:25]
	v_add_f64 v[28:29], v[18:19], v[14:15]
	;; [unrolled: 1-line block ×3, first 2 shown]
	ds_read_b128 v[28:31], v52 offset:42240
	ds_read_b128 v[116:119], v52 offset:44160
	s_waitcnt lgkmcnt(1)
	v_add_f64 v[60:61], v[24:25], v[28:29]
	v_add_f64 v[187:188], v[26:27], -v[30:31]
	v_add_f64 v[62:63], v[26:27], v[30:31]
	v_add_f64 v[193:194], v[24:25], -v[28:29]
	ds_read_b128 v[24:27], v52 offset:53760
	ds_read_b128 v[120:123], v52 offset:55680
	s_waitcnt lgkmcnt(0)
	s_barrier
	buffer_gl0_inv
	v_add_f64 v[199:200], v[14:15], -v[26:27]
	v_add_f64 v[201:202], v[12:13], v[24:25]
	v_add_f64 v[203:204], v[12:13], -v[24:25]
	v_add_f64 v[12:13], v[14:15], v[26:27]
	v_add_f64 v[14:15], v[48:49], v[28:29]
	v_add_f64 v[48:49], v[50:51], v[30:31]
	v_add_f64 v[205:206], v[24:25], -v[28:29]
	v_add_f64 v[207:208], v[28:29], -v[24:25]
	;; [unrolled: 1-line block ×4, first 2 shown]
	v_fma_f64 v[30:31], v[128:129], -0.5, v[8:9]
	v_fma_f64 v[128:129], v[135:136], -0.5, v[10:11]
	;; [unrolled: 1-line block ×4, first 2 shown]
	v_add_f64 v[62:63], v[42:43], v[80:81]
	v_add_f64 v[50:51], v[42:43], -v[80:81]
	v_add_f64 v[42:43], v[149:150], v[151:152]
	v_fma_f64 v[88:89], v[153:154], -0.5, v[4:5]
	v_fma_f64 v[153:154], v[159:160], -0.5, v[6:7]
	;; [unrolled: 1-line block ×5, first 2 shown]
	v_add_f64 v[60:61], v[40:41], v[78:79]
	v_fma_f64 v[201:202], v[201:202], -0.5, v[16:17]
	v_add_f64 v[16:17], v[131:132], v[133:134]
	v_fma_f64 v[213:214], v[12:13], -0.5, v[18:19]
	v_add_f64 v[14:15], v[14:15], v[24:25]
	v_add_f64 v[24:25], v[48:49], v[26:27]
	v_fma_f64 v[26:27], v[90:91], -0.5, v[8:9]
	v_fma_f64 v[90:91], v[143:144], -0.5, v[10:11]
	;; [unrolled: 1-line block ×4, first 2 shown]
	v_add_f64 v[48:49], v[40:41], -v[78:79]
	v_add_f64 v[40:41], v[139:140], v[141:142]
	v_fma_f64 v[8:9], v[145:146], s[14:15], v[135:136]
	v_add_f64 v[18:19], v[53:54], v[38:39]
	v_add_f64 v[38:39], v[155:156], v[161:162]
	v_add_f64 v[139:140], v[56:57], -v[72:73]
	v_add_f64 v[141:142], v[72:73], -v[56:57]
	v_add_f64 v[149:150], v[56:57], v[68:69]
	v_add_f64 v[151:152], v[68:69], -v[64:65]
	v_add_f64 v[161:162], v[114:115], v[118:119]
	;; [unrolled: 2-line block ×3, first 2 shown]
	v_add_f64 v[2:3], v[185:186], v[24:25]
	v_add_f64 v[4:5], v[183:184], -v[14:15]
	v_add_f64 v[6:7], v[185:186], -v[24:25]
	v_fma_f64 v[10:11], v[86:87], s[16:17], v[143:144]
	v_add_f64 v[24:25], v[124:125], v[126:127]
	v_fma_f64 v[14:15], v[137:138], s[16:17], v[128:129]
	v_fma_f64 v[80:81], v[36:37], s[14:15], v[90:91]
	;; [unrolled: 1-line block ×3, first 2 shown]
	v_add_f64 v[126:127], v[189:190], v[205:206]
	v_fma_f64 v[10:11], v[32:33], s[12:13], v[10:11]
	v_fma_f64 v[14:15], v[36:37], s[12:13], v[14:15]
	;; [unrolled: 1-line block ×7, first 2 shown]
	v_mul_f64 v[12:13], v[8:9], s[22:23]
	v_mul_f64 v[8:9], v[8:9], s[12:13]
	v_fma_f64 v[12:13], v[10:11], s[6:7], v[12:13]
	v_fma_f64 v[10:11], v[10:11], s[22:23], v[8:9]
	;; [unrolled: 1-line block ×3, first 2 shown]
	v_add_f64 v[78:79], v[14:15], v[10:11]
	v_fma_f64 v[8:9], v[20:21], s[6:7], v[8:9]
	v_add_f64 v[10:11], v[14:15], -v[10:11]
	v_fma_f64 v[14:15], v[147:148], s[16:17], v[88:89]
	v_fma_f64 v[8:9], v[24:25], s[8:9], v[8:9]
	;; [unrolled: 1-line block ×3, first 2 shown]
	v_add_f64 v[76:77], v[8:9], v[12:13]
	v_add_f64 v[8:9], v[8:9], -v[12:13]
	v_fma_f64 v[12:13], v[32:33], s[14:15], v[153:154]
	v_fma_f64 v[14:15], v[38:39], s[8:9], v[14:15]
	;; [unrolled: 1-line block ×4, first 2 shown]
	v_mul_f64 v[53:54], v[12:13], s[14:15]
	v_fma_f64 v[53:54], v[14:15], s[8:9], v[53:54]
	v_mul_f64 v[14:15], v[14:15], s[16:17]
	v_fma_f64 v[14:15], v[12:13], s[8:9], v[14:15]
	v_fma_f64 v[12:13], v[20:21], s[16:17], v[30:31]
	;; [unrolled: 1-line block ×3, first 2 shown]
	v_add_f64 v[82:83], v[124:125], v[14:15]
	v_fma_f64 v[12:13], v[22:23], s[6:7], v[12:13]
	v_fma_f64 v[30:31], v[22:23], s[12:13], v[30:31]
	;; [unrolled: 1-line block ×4, first 2 shown]
	v_add_f64 v[128:129], v[195:196], v[28:29]
	v_add_f64 v[14:15], v[124:125], -v[14:15]
	v_add_f64 v[124:125], v[44:45], v[179:180]
	v_add_f64 v[44:45], v[191:192], v[207:208]
	v_fma_f64 v[12:13], v[16:17], s[8:9], v[12:13]
	v_fma_f64 v[16:17], v[16:17], s[8:9], v[30:31]
	;; [unrolled: 1-line block ×5, first 2 shown]
	v_add_f64 v[80:81], v[12:13], v[53:54]
	v_add_f64 v[12:13], v[12:13], -v[53:54]
	v_fma_f64 v[30:31], v[137:138], s[6:7], v[30:31]
	v_fma_f64 v[20:21], v[24:25], s[8:9], v[20:21]
	;; [unrolled: 1-line block ×3, first 2 shown]
	v_add_f64 v[53:54], v[165:166], v[175:176]
	v_add_f64 v[40:41], v[167:168], v[177:178]
	v_add_f64 v[137:138], v[74:75], -v[66:67]
	v_add_f64 v[165:166], v[110:111], -v[122:123]
	v_add_f64 v[167:168], v[108:109], v[120:121]
	v_add_f64 v[175:176], v[122:123], -v[118:119]
	v_fma_f64 v[18:19], v[18:19], s[8:9], v[30:31]
	v_fma_f64 v[30:31], v[147:148], s[14:15], v[88:89]
	;; [unrolled: 1-line block ×5, first 2 shown]
	v_add_f64 v[153:154], v[70:71], -v[66:67]
	v_fma_f64 v[38:39], v[86:87], s[6:7], v[38:39]
	v_fma_f64 v[34:35], v[34:35], s[8:9], v[38:39]
	v_mul_f64 v[38:39], v[30:31], s[18:19]
	v_fma_f64 v[38:39], v[34:35], s[14:15], v[38:39]
	v_mul_f64 v[34:35], v[34:35], s[18:19]
	v_add_f64 v[88:89], v[16:17], v[38:39]
	v_fma_f64 v[30:31], v[30:31], s[16:17], v[34:35]
	v_fma_f64 v[34:35], v[86:87], s[14:15], v[143:144]
	v_add_f64 v[16:17], v[16:17], -v[38:39]
	v_add_f64 v[143:144], v[74:75], v[66:67]
	v_add_f64 v[90:91], v[18:19], v[30:31]
	v_add_f64 v[18:19], v[18:19], -v[30:31]
	v_fma_f64 v[30:31], v[145:146], s[16:17], v[135:136]
	v_fma_f64 v[26:27], v[32:33], s[6:7], v[34:35]
	v_add_f64 v[135:136], v[72:73], v[64:65]
	v_add_f64 v[145:146], v[58:59], -v[74:75]
	v_fma_f64 v[30:31], v[147:148], s[12:13], v[30:31]
	v_fma_f64 v[24:25], v[84:85], s[8:9], v[26:27]
	v_add_f64 v[147:148], v[58:59], -v[70:71]
	v_fma_f64 v[30:31], v[42:43], s[8:9], v[30:31]
	v_add_f64 v[42:43], v[46:47], v[181:182]
	v_add_f64 v[46:47], v[197:198], v[209:210]
	v_mul_f64 v[26:27], v[30:31], s[20:21]
	v_fma_f64 v[26:27], v[24:25], s[6:7], v[26:27]
	v_mul_f64 v[24:25], v[24:25], s[20:21]
	v_add_f64 v[84:85], v[20:21], v[26:27]
	v_fma_f64 v[24:25], v[30:31], s[12:13], v[24:25]
	v_add_f64 v[20:21], v[20:21], -v[26:27]
	v_fma_f64 v[26:27], v[203:204], s[16:17], v[211:212]
	v_add_f64 v[86:87], v[22:23], v[24:25]
	v_add_f64 v[22:23], v[22:23], -v[24:25]
	v_fma_f64 v[24:25], v[199:200], s[14:15], v[173:174]
	v_fma_f64 v[26:27], v[193:194], s[12:13], v[26:27]
	;; [unrolled: 1-line block ×5, first 2 shown]
	v_mul_f64 v[28:29], v[24:25], s[22:23]
	v_mul_f64 v[24:25], v[24:25], s[12:13]
	v_fma_f64 v[32:33], v[26:27], s[6:7], v[28:29]
	v_fma_f64 v[26:27], v[26:27], s[22:23], v[24:25]
	v_fma_f64 v[24:25], v[96:97], s[14:15], v[157:158]
	v_fma_f64 v[28:29], v[98:99], s[16:17], v[169:170]
	v_fma_f64 v[24:25], v[92:93], s[6:7], v[24:25]
	v_fma_f64 v[28:29], v[94:95], s[12:13], v[28:29]
	v_fma_f64 v[24:25], v[53:54], s[8:9], v[24:25]
	v_fma_f64 v[34:35], v[124:125], s[8:9], v[28:29]
	v_add_f64 v[28:29], v[24:25], v[32:33]
	v_add_f64 v[24:25], v[24:25], -v[32:33]
	v_fma_f64 v[32:33], v[193:194], s[14:15], v[213:214]
	v_add_f64 v[30:31], v[34:35], v[26:27]
	v_add_f64 v[26:27], v[34:35], -v[26:27]
	v_fma_f64 v[34:35], v[187:188], s[16:17], v[201:202]
	v_fma_f64 v[32:33], v[203:204], s[12:13], v[32:33]
	;; [unrolled: 1-line block ×5, first 2 shown]
	v_mul_f64 v[36:37], v[32:33], s[14:15]
	v_fma_f64 v[131:132], v[34:35], s[8:9], v[36:37]
	v_mul_f64 v[34:35], v[34:35], s[16:17]
	v_fma_f64 v[36:37], v[94:95], s[14:15], v[171:172]
	v_fma_f64 v[34:35], v[32:33], s[8:9], v[34:35]
	;; [unrolled: 1-line block ×7, first 2 shown]
	v_add_f64 v[38:39], v[133:134], v[34:35]
	v_add_f64 v[34:35], v[133:134], -v[34:35]
	v_add_f64 v[36:37], v[32:33], v[131:132]
	v_add_f64 v[32:33], v[32:33], -v[131:132]
	v_fma_f64 v[131:132], v[92:93], s[14:15], v[159:160]
	v_add_f64 v[159:160], v[112:113], -v[108:109]
	v_fma_f64 v[131:132], v[96:97], s[12:13], v[131:132]
	v_fma_f64 v[96:97], v[96:97], s[16:17], v[157:158]
	;; [unrolled: 1-line block ×4, first 2 shown]
	v_add_f64 v[171:172], v[120:121], -v[116:117]
	v_fma_f64 v[92:93], v[92:93], s[12:13], v[96:97]
	v_fma_f64 v[131:132], v[98:99], s[6:7], v[131:132]
	;; [unrolled: 1-line block ×13, first 2 shown]
	v_mul_f64 v[131:132], v[44:45], s[18:19]
	v_fma_f64 v[131:132], v[46:47], s[14:15], v[131:132]
	v_mul_f64 v[46:47], v[46:47], s[18:19]
	v_fma_f64 v[133:134], v[44:45], s[16:17], v[46:47]
	v_add_f64 v[44:45], v[40:41], v[131:132]
	v_add_f64 v[40:41], v[40:41], -v[131:132]
	v_add_f64 v[131:132], v[100:101], v[56:57]
	v_add_f64 v[55:56], v[56:57], -v[68:69]
	;; [unrolled: 2-line block ×3, first 2 shown]
	v_add_f64 v[133:134], v[102:103], v[58:59]
	v_add_f64 v[131:132], v[131:132], v[72:73]
	v_add_f64 v[72:73], v[72:73], -v[64:65]
	v_add_f64 v[133:134], v[133:134], v[74:75]
	v_add_f64 v[74:75], v[74:75], -v[58:59]
	v_add_f64 v[57:58], v[58:59], v[70:71]
	v_add_f64 v[131:132], v[131:132], v[64:65]
	v_add_f64 v[64:65], v[64:65], -v[68:69]
	v_add_f64 v[133:134], v[133:134], v[66:67]
	v_add_f64 v[66:67], v[66:67], -v[70:71]
	v_fma_f64 v[57:58], v[57:58], -0.5, v[102:103]
	v_add_f64 v[131:132], v[131:132], v[68:69]
	v_fma_f64 v[68:69], v[135:136], -0.5, v[100:101]
	v_add_f64 v[135:136], v[106:107], v[110:111]
	v_add_f64 v[64:65], v[141:142], v[64:65]
	;; [unrolled: 1-line block ×3, first 2 shown]
	v_fma_f64 v[70:71], v[149:150], -0.5, v[100:101]
	v_fma_f64 v[100:101], v[143:144], -0.5, v[102:103]
	v_add_f64 v[102:103], v[104:105], v[108:109]
	v_add_f64 v[149:150], v[114:115], -v[118:119]
	v_add_f64 v[135:136], v[135:136], v[114:115]
	v_add_f64 v[114:115], v[114:115], -v[110:111]
	v_add_f64 v[110:111], v[110:111], v[122:123]
	v_add_f64 v[143:144], v[112:113], v[116:117]
	v_add_f64 v[108:109], v[108:109], -v[120:121]
	v_add_f64 v[66:67], v[74:75], v[66:67]
	v_fma_f64 v[124:125], v[137:138], s[16:17], v[70:71]
	v_fma_f64 v[70:71], v[137:138], s[14:15], v[70:71]
	v_add_f64 v[102:103], v[102:103], v[112:113]
	v_add_f64 v[112:113], v[112:113], -v[116:117]
	v_add_f64 v[135:136], v[135:136], v[118:119]
	v_add_f64 v[118:119], v[118:119], -v[122:123]
	v_fma_f64 v[124:125], v[147:148], s[6:7], v[124:125]
	v_fma_f64 v[70:71], v[147:148], s[12:13], v[70:71]
	v_add_f64 v[102:103], v[102:103], v[116:117]
	v_add_f64 v[116:117], v[116:117], -v[120:121]
	v_add_f64 v[102:103], v[102:103], v[120:121]
	v_add_f64 v[120:121], v[135:136], v[122:123]
	v_fma_f64 v[135:136], v[161:162], -0.5, v[106:107]
	v_fma_f64 v[106:107], v[110:111], -0.5, v[106:107]
	v_fma_f64 v[110:111], v[199:200], s[16:17], v[173:174]
	v_fma_f64 v[122:123], v[143:144], -0.5, v[104:105]
	v_fma_f64 v[143:144], v[203:204], s[14:15], v[211:212]
	v_fma_f64 v[104:105], v[167:168], -0.5, v[104:105]
	v_add_f64 v[116:117], v[159:160], v[116:117]
	v_fma_f64 v[96:97], v[187:188], s[12:13], v[110:111]
	v_fma_f64 v[110:111], v[147:148], s[14:15], v[68:69]
	;; [unrolled: 1-line block ×7, first 2 shown]
	v_add_f64 v[98:99], v[139:140], v[151:152]
	v_fma_f64 v[128:129], v[55:56], s[16:17], v[100:101]
	v_fma_f64 v[100:101], v[55:56], s[14:15], v[100:101]
	v_fma_f64 v[68:69], v[137:138], s[12:13], v[68:69]
	v_add_f64 v[126:127], v[145:146], v[153:154]
	v_fma_f64 v[137:138], v[72:73], s[14:15], v[57:58]
	v_fma_f64 v[57:58], v[72:73], s[16:17], v[57:58]
	v_mul_f64 v[139:140], v[94:95], s[20:21]
	v_fma_f64 v[128:129], v[72:73], s[12:13], v[128:129]
	v_fma_f64 v[72:73], v[72:73], s[6:7], v[100:101]
	;; [unrolled: 1-line block ×4, first 2 shown]
	v_add_f64 v[68:69], v[163:164], v[175:176]
	v_fma_f64 v[74:75], v[55:56], s[12:13], v[137:138]
	v_fma_f64 v[55:56], v[55:56], s[6:7], v[57:58]
	v_add_f64 v[57:58], v[155:156], v[171:172]
	v_fma_f64 v[137:138], v[149:150], s[16:17], v[104:105]
	v_fma_f64 v[104:105], v[149:150], s[14:15], v[104:105]
	;; [unrolled: 1-line block ×4, first 2 shown]
	v_mul_f64 v[96:97], v[96:97], s[20:21]
	v_fma_f64 v[100:101], v[149:150], s[6:7], v[100:101]
	v_fma_f64 v[143:144], v[66:67], s[8:9], v[55:56]
	;; [unrolled: 1-line block ×16, first 2 shown]
	v_add_f64 v[100:101], v[114:115], v[118:119]
	v_fma_f64 v[66:67], v[116:117], s[8:9], v[104:105]
	v_fma_f64 v[64:65], v[116:117], s[8:9], v[137:138]
	;; [unrolled: 1-line block ×3, first 2 shown]
	v_add_f64 v[114:115], v[133:134], -v[120:121]
	v_fma_f64 v[70:71], v[112:113], s[12:13], v[70:71]
	v_fma_f64 v[72:73], v[112:113], s[6:7], v[72:73]
	v_mul_f64 v[104:105], v[55:56], s[22:23]
	v_fma_f64 v[74:75], v[108:109], s[6:7], v[74:75]
	v_mul_f64 v[55:56], v[55:56], s[12:13]
	v_fma_f64 v[70:71], v[68:69], s[8:9], v[70:71]
	v_fma_f64 v[68:69], v[68:69], s[8:9], v[72:73]
	;; [unrolled: 1-line block ×3, first 2 shown]
	v_add_f64 v[112:113], v[131:132], -v[102:103]
	v_fma_f64 v[74:75], v[100:101], s[8:9], v[74:75]
	v_fma_f64 v[106:107], v[70:71], s[22:23], v[55:56]
	v_mul_f64 v[55:56], v[66:67], s[18:19]
	v_fma_f64 v[72:73], v[108:109], s[12:13], v[72:73]
	v_fma_f64 v[116:117], v[74:75], s[14:15], v[55:56]
	;; [unrolled: 1-line block ×4, first 2 shown]
	v_mul_f64 v[55:56], v[74:75], s[18:19]
	v_add_f64 v[70:71], v[92:93], v[94:95]
	v_add_f64 v[74:75], v[110:111], -v[106:107]
	v_mul_f64 v[104:105], v[72:73], s[14:15]
	v_fma_f64 v[118:119], v[66:67], s[16:17], v[55:56]
	v_mul_f64 v[55:56], v[68:69], s[20:21]
	v_add_f64 v[66:67], v[92:93], -v[94:95]
	v_add_f64 v[92:93], v[96:97], v[100:101]
	v_add_f64 v[94:95], v[110:111], v[106:107]
	v_fma_f64 v[104:105], v[64:65], s[8:9], v[104:105]
	v_mul_f64 v[64:65], v[64:65], s[16:17]
	v_add_f64 v[110:111], v[143:144], v[118:119]
	v_fma_f64 v[135:136], v[57:58], s[12:13], v[55:56]
	v_add_f64 v[106:107], v[143:144], -v[118:119]
	v_fma_f64 v[108:109], v[72:73], s[8:9], v[64:65]
	v_mul_f64 v[64:65], v[57:58], s[20:21]
	v_add_f64 v[56:57], v[131:132], v[102:103]
	v_mov_b32_e32 v131, 4
	v_add_f64 v[58:59], v[133:134], v[120:121]
	v_add_co_u32 v133, null, 0x78, v255
	v_add_co_u32 v132, null, 0xf0, v255
	v_add_f64 v[72:73], v[96:97], -v[100:101]
	v_add_f64 v[100:101], v[98:99], v[104:105]
	v_add_f64 v[96:97], v[98:99], -v[104:105]
	v_add_f64 v[104:105], v[124:125], -v[116:117]
	v_add_f64 v[118:119], v[126:127], v[135:136]
	v_and_b32_e32 v134, 0xff, v133
	v_add_f64 v[102:103], v[128:129], v[108:109]
	v_fma_f64 v[122:123], v[68:69], s[6:7], v[64:65]
	v_add_f64 v[68:69], v[53:54], v[139:140]
	v_add_f64 v[64:65], v[53:54], -v[139:140]
	v_mul_lo_u16 v53, v130, 10
	v_add_f64 v[98:99], v[128:129], -v[108:109]
	v_add_f64 v[108:109], v[124:125], v[116:117]
	v_lshlrev_b32_sdwa v160, v131, v53 dst_sel:DWORD dst_unused:UNUSED_PAD src0_sel:DWORD src1_sel:WORD_0
	ds_write_b128 v160, v[60:63]
	ds_write_b128 v160, v[76:79] offset:16
	ds_write_b128 v160, v[80:83] offset:32
	;; [unrolled: 1-line block ×5, first 2 shown]
	v_and_b32_e32 v48, 0xff, v130
	v_mul_u32_u24_e32 v53, 10, v133
	ds_write_b128 v160, v[8:11] offset:96
	ds_write_b128 v160, v[12:15] offset:112
	;; [unrolled: 1-line block ×3, first 2 shown]
	v_mul_lo_u16 v8, 0xcd, v48
	v_lshlrev_b32_e32 v252, 4, v53
	ds_write_b128 v160, v[20:23] offset:144
	ds_write_b128 v252, v[0:3]
	ds_write_b128 v252, v[28:31] offset:16
	ds_write_b128 v252, v[36:39] offset:32
	v_lshrrev_b16 v53, 11, v8
	v_mul_u32_u24_e32 v0, 10, v132
	v_add_f64 v[116:117], v[141:142], v[122:123]
	v_add_f64 v[120:121], v[141:142], -v[122:123]
	v_add_f64 v[122:123], v[126:127], -v[135:136]
	v_mul_lo_u16 v1, v53, 10
	v_lshlrev_b32_e32 v189, 4, v0
	ds_write_b128 v252, v[44:47] offset:48
	ds_write_b128 v252, v[68:71] offset:64
	ds_write_b128 v252, v[4:7] offset:80
	ds_write_b128 v252, v[24:27] offset:96
	v_sub_nc_u16 v0, v130, v1
	ds_write_b128 v252, v[32:35] offset:112
	ds_write_b128 v252, v[40:43] offset:128
	;; [unrolled: 1-line block ×3, first 2 shown]
	ds_write_b128 v189, v[56:59]
	ds_write_b128 v189, v[92:95] offset:16
	ds_write_b128 v189, v[100:103] offset:32
	ds_write_b128 v189, v[108:111] offset:48
	ds_write_b128 v189, v[116:119] offset:64
	ds_write_b128 v189, v[112:115] offset:80
	v_and_b32_e32 v137, 0xff, v0
	ds_write_b128 v189, v[72:75] offset:96
	ds_write_b128 v189, v[96:99] offset:112
	;; [unrolled: 1-line block ×4, first 2 shown]
	s_waitcnt lgkmcnt(0)
	s_barrier
	buffer_gl0_inv
	v_mad_u64_u32 v[0:1], null, 0x90, v137, s[10:11]
	s_clause 0x8
	global_load_dwordx4 v[24:27], v[0:1], off
	global_load_dwordx4 v[116:119], v[0:1], off offset:16
	global_load_dwordx4 v[112:115], v[0:1], off offset:32
	;; [unrolled: 1-line block ×8, first 2 shown]
	v_mul_lo_u16 v0, 0xcd, v134
	v_lshrrev_b16 v135, 11, v0
	v_mul_lo_u16 v0, v135, 10
	v_sub_nc_u16 v0, v133, v0
	v_and_b32_e32 v136, 0xff, v0
	v_mad_u64_u32 v[86:87], null, 0x90, v136, s[10:11]
	global_load_dwordx4 v[92:95], v[86:87], off
	ds_read_b128 v[4:7], v52 offset:5760
	ds_read_b128 v[8:11], v52 offset:11520
	;; [unrolled: 1-line block ×14, first 2 shown]
	s_waitcnt vmcnt(9)
	v_mov_b32_e32 v123, v27
	v_mov_b32_e32 v122, v26
	;; [unrolled: 1-line block ×4, first 2 shown]
	buffer_store_dword v120, off, s[36:39], 0 offset:496 ; 4-byte Folded Spill
	buffer_store_dword v121, off, s[36:39], 0 offset:500 ; 4-byte Folded Spill
	;; [unrolled: 1-line block ×4, first 2 shown]
	s_waitcnt lgkmcnt(13)
	v_mul_f64 v[20:21], v[6:7], v[26:27]
	v_mul_f64 v[22:23], v[4:5], v[26:27]
	s_waitcnt vmcnt(8) lgkmcnt(12)
	v_mul_f64 v[24:25], v[10:11], v[118:119]
	v_mul_f64 v[26:27], v[8:9], v[118:119]
	buffer_store_dword v116, off, s[36:39], 0 offset:512 ; 4-byte Folded Spill
	buffer_store_dword v117, off, s[36:39], 0 offset:516 ; 4-byte Folded Spill
	buffer_store_dword v118, off, s[36:39], 0 offset:520 ; 4-byte Folded Spill
	buffer_store_dword v119, off, s[36:39], 0 offset:524 ; 4-byte Folded Spill
	s_waitcnt vmcnt(7) lgkmcnt(11)
	v_mul_f64 v[28:29], v[14:15], v[114:115]
	v_mul_f64 v[32:33], v[12:13], v[114:115]
	buffer_store_dword v112, off, s[36:39], 0 offset:544 ; 4-byte Folded Spill
	buffer_store_dword v113, off, s[36:39], 0 offset:548 ; 4-byte Folded Spill
	buffer_store_dword v114, off, s[36:39], 0 offset:552 ; 4-byte Folded Spill
	buffer_store_dword v115, off, s[36:39], 0 offset:556 ; 4-byte Folded Spill
	;; [unrolled: 7-line block ×3, first 2 shown]
	s_waitcnt vmcnt(5) lgkmcnt(9)
	v_mul_f64 v[50:51], v[40:41], v[106:107]
	v_mul_f64 v[78:79], v[38:39], v[106:107]
	v_fma_f64 v[20:21], v[4:5], v[120:121], -v[20:21]
	v_fma_f64 v[22:23], v[6:7], v[120:121], v[22:23]
	s_waitcnt vmcnt(4)
	v_mov_b32_e32 v4, v80
	v_mov_b32_e32 v7, v83
	v_mov_b32_e32 v5, v81
	v_mov_b32_e32 v6, v82
	v_fma_f64 v[24:25], v[8:9], v[116:117], -v[24:25]
	v_fma_f64 v[26:27], v[10:11], v[116:117], v[26:27]
	v_mov_b32_e32 v119, v7
	v_mov_b32_e32 v117, v5
	;; [unrolled: 1-line block ×4, first 2 shown]
	s_waitcnt lgkmcnt(4)
	v_mul_f64 v[80:81], v[44:45], v[6:7]
	v_mul_f64 v[82:83], v[42:43], v[6:7]
	ds_read_b128 v[4:7], v52 offset:46080
	buffer_store_dword v104, off, s[36:39], 0 offset:560 ; 4-byte Folded Spill
	buffer_store_dword v105, off, s[36:39], 0 offset:564 ; 4-byte Folded Spill
	;; [unrolled: 1-line block ×4, first 2 shown]
	v_fma_f64 v[30:31], v[12:13], v[112:113], -v[28:29]
	v_fma_f64 v[28:29], v[14:15], v[112:113], v[32:33]
	s_waitcnt vmcnt(3) lgkmcnt(4)
	v_mul_f64 v[12:13], v[48:49], v[102:103]
	v_mul_f64 v[14:15], v[46:47], v[102:103]
	ds_read_b128 v[8:11], v52 offset:48000
	buffer_store_dword v116, off, s[36:39], 0 offset:576 ; 4-byte Folded Spill
	buffer_store_dword v117, off, s[36:39], 0 offset:580 ; 4-byte Folded Spill
	;; [unrolled: 1-line block ×8, first 2 shown]
	v_fma_f64 v[32:33], v[16:17], v[108:109], -v[34:35]
	v_fma_f64 v[34:35], v[18:19], v[108:109], v[36:37]
	s_waitcnt vmcnt(2) lgkmcnt(1)
	v_mul_f64 v[16:17], v[6:7], v[98:99]
	v_mul_f64 v[18:19], v[4:5], v[98:99]
	v_fma_f64 v[36:37], v[40:41], v[104:105], v[78:79]
	v_fma_f64 v[38:39], v[38:39], v[104:105], -v[50:51]
	v_fma_f64 v[40:41], v[42:43], v[116:117], -v[80:81]
	v_fma_f64 v[42:43], v[44:45], v[116:117], v[82:83]
	v_fma_f64 v[46:47], v[46:47], v[100:101], -v[12:13]
	v_fma_f64 v[44:45], v[48:49], v[100:101], v[14:15]
	ds_read_b128 v[12:15], v52 offset:51840
	buffer_store_dword v96, off, s[36:39], 0 offset:608 ; 4-byte Folded Spill
	buffer_store_dword v97, off, s[36:39], 0 offset:612 ; 4-byte Folded Spill
	buffer_store_dword v98, off, s[36:39], 0 offset:616 ; 4-byte Folded Spill
	buffer_store_dword v99, off, s[36:39], 0 offset:620 ; 4-byte Folded Spill
	v_add_f64 v[181:182], v[32:33], -v[40:41]
	v_add_f64 v[177:178], v[34:35], -v[42:43]
	;; [unrolled: 1-line block ×4, first 2 shown]
	v_fma_f64 v[48:49], v[4:5], v[96:97], -v[16:17]
	v_fma_f64 v[50:51], v[6:7], v[96:97], v[18:19]
	ds_read_b128 v[4:7], v52 offset:49920
	s_waitcnt vmcnt(1)
	buffer_store_dword v88, off, s[36:39], 0 offset:624 ; 4-byte Folded Spill
	buffer_store_dword v89, off, s[36:39], 0 offset:628 ; 4-byte Folded Spill
	;; [unrolled: 1-line block ×4, first 2 shown]
	v_add_f64 v[179:180], v[24:25], -v[48:49]
	v_add_f64 v[175:176], v[26:27], -v[50:51]
	s_waitcnt lgkmcnt(1)
	v_mul_f64 v[16:17], v[14:15], v[90:91]
	v_fma_f64 v[126:127], v[12:13], v[88:89], -v[16:17]
	v_mul_f64 v[12:13], v[12:13], v[90:91]
	v_add_f64 v[165:166], v[30:31], -v[126:127]
	v_fma_f64 v[124:125], v[14:15], v[88:89], v[12:13]
	ds_read_b128 v[12:15], v52 offset:7680
	ds_read_b128 v[16:19], v52 offset:9600
	s_waitcnt vmcnt(0)
	buffer_store_dword v92, off, s[36:39], 0 offset:640 ; 4-byte Folded Spill
	buffer_store_dword v93, off, s[36:39], 0 offset:644 ; 4-byte Folded Spill
	;; [unrolled: 1-line block ×4, first 2 shown]
	v_add_f64 v[169:170], v[28:29], -v[124:125]
	s_waitcnt lgkmcnt(1)
	v_mul_f64 v[78:79], v[14:15], v[94:95]
	v_fma_f64 v[88:89], v[12:13], v[92:93], -v[78:79]
	global_load_dwordx4 v[78:81], v[86:87], off offset:16
	v_mul_f64 v[12:13], v[12:13], v[94:95]
	s_waitcnt vmcnt(0)
	buffer_store_dword v78, off, s[36:39], 0 offset:672 ; 4-byte Folded Spill
	buffer_store_dword v79, off, s[36:39], 0 offset:676 ; 4-byte Folded Spill
	;; [unrolled: 1-line block ×4, first 2 shown]
	global_load_dwordx4 v[82:85], v[86:87], off offset:32
	v_fma_f64 v[90:91], v[14:15], v[92:93], v[12:13]
	s_waitcnt vmcnt(0)
	buffer_store_dword v82, off, s[36:39], 0 offset:656 ; 4-byte Folded Spill
	buffer_store_dword v83, off, s[36:39], 0 offset:660 ; 4-byte Folded Spill
	;; [unrolled: 1-line block ×4, first 2 shown]
	v_mul_f64 v[12:13], v[56:57], v[80:81]
	v_fma_f64 v[92:93], v[54:55], v[78:79], -v[12:13]
	v_mul_f64 v[12:13], v[54:55], v[80:81]
	v_fma_f64 v[94:95], v[56:57], v[78:79], v[12:13]
	ds_read_b128 v[12:15], v52 offset:19200
	ds_read_b128 v[78:81], v52 offset:21120
	s_waitcnt lgkmcnt(1)
	v_mul_f64 v[54:55], v[14:15], v[84:85]
	v_fma_f64 v[98:99], v[12:13], v[82:83], -v[54:55]
	global_load_dwordx4 v[54:57], v[86:87], off offset:48
	v_mul_f64 v[12:13], v[12:13], v[84:85]
	s_waitcnt vmcnt(0)
	buffer_store_dword v54, off, s[36:39], 0 offset:688 ; 4-byte Folded Spill
	buffer_store_dword v55, off, s[36:39], 0 offset:692 ; 4-byte Folded Spill
	;; [unrolled: 1-line block ×4, first 2 shown]
	global_load_dwordx4 v[108:111], v[86:87], off offset:64
	v_fma_f64 v[96:97], v[14:15], v[82:83], v[12:13]
	v_mul_f64 v[12:13], v[60:61], v[56:57]
	v_fma_f64 v[100:101], v[58:59], v[54:55], -v[12:13]
	v_mul_f64 v[12:13], v[58:59], v[56:57]
	v_fma_f64 v[102:103], v[60:61], v[54:55], v[12:13]
	ds_read_b128 v[12:15], v52 offset:30720
	ds_read_b128 v[82:85], v52 offset:32640
	s_waitcnt vmcnt(0) lgkmcnt(1)
	v_mul_f64 v[54:55], v[14:15], v[110:111]
	v_fma_f64 v[106:107], v[12:13], v[108:109], -v[54:55]
	buffer_store_dword v108, off, s[36:39], 0 offset:704 ; 4-byte Folded Spill
	buffer_store_dword v109, off, s[36:39], 0 offset:708 ; 4-byte Folded Spill
	;; [unrolled: 1-line block ×4, first 2 shown]
	v_mul_f64 v[12:13], v[12:13], v[110:111]
	global_load_dwordx4 v[110:113], v[86:87], off offset:80
	s_waitcnt vmcnt(0)
	buffer_store_dword v110, off, s[36:39], 0 offset:736 ; 4-byte Folded Spill
	buffer_store_dword v111, off, s[36:39], 0 offset:740 ; 4-byte Folded Spill
	;; [unrolled: 1-line block ×4, first 2 shown]
	global_load_dwordx4 v[56:59], v[86:87], off offset:96
	v_fma_f64 v[104:105], v[14:15], v[108:109], v[12:13]
	s_waitcnt vmcnt(0)
	buffer_store_dword v56, off, s[36:39], 0 offset:720 ; 4-byte Folded Spill
	buffer_store_dword v57, off, s[36:39], 0 offset:724 ; 4-byte Folded Spill
	buffer_store_dword v58, off, s[36:39], 0 offset:728 ; 4-byte Folded Spill
	buffer_store_dword v59, off, s[36:39], 0 offset:732 ; 4-byte Folded Spill
	v_mul_f64 v[12:13], v[68:69], v[112:113]
	v_fma_f64 v[108:109], v[66:67], v[110:111], -v[12:13]
	v_mul_f64 v[12:13], v[66:67], v[112:113]
	v_fma_f64 v[110:111], v[68:69], v[110:111], v[12:13]
	ds_read_b128 v[12:15], v52 offset:42240
	ds_read_b128 v[140:143], v52 offset:44160
	global_load_dwordx4 v[66:69], v[86:87], off offset:112
	s_waitcnt vmcnt(0)
	buffer_store_dword v66, off, s[36:39], 0 offset:752 ; 4-byte Folded Spill
	buffer_store_dword v67, off, s[36:39], 0 offset:756 ; 4-byte Folded Spill
	;; [unrolled: 1-line block ×4, first 2 shown]
	s_waitcnt lgkmcnt(1)
	v_mul_f64 v[54:55], v[14:15], v[58:59]
	v_fma_f64 v[114:115], v[12:13], v[56:57], -v[54:55]
	v_mul_f64 v[12:13], v[12:13], v[58:59]
	v_fma_f64 v[112:113], v[14:15], v[56:57], v[12:13]
	global_load_dwordx4 v[56:59], v[86:87], off offset:128
	v_mul_f64 v[12:13], v[10:11], v[68:69]
	v_fma_f64 v[116:117], v[8:9], v[66:67], -v[12:13]
	v_mul_f64 v[8:9], v[8:9], v[68:69]
	v_fma_f64 v[118:119], v[10:11], v[66:67], v[8:9]
	ds_read_b128 v[8:11], v52 offset:53760
	ds_read_b128 v[12:15], v52 offset:55680
	s_waitcnt vmcnt(0)
	buffer_store_dword v56, off, s[36:39], 0 offset:768 ; 4-byte Folded Spill
	buffer_store_dword v57, off, s[36:39], 0 offset:772 ; 4-byte Folded Spill
	;; [unrolled: 1-line block ×4, first 2 shown]
	s_waitcnt lgkmcnt(1)
	v_mul_f64 v[54:55], v[10:11], v[58:59]
	v_fma_f64 v[122:123], v[8:9], v[56:57], -v[54:55]
	v_mul_f64 v[8:9], v[8:9], v[58:59]
	v_fma_f64 v[120:121], v[10:11], v[56:57], v[8:9]
	v_mov_b32_e32 v8, 0xcccd
	v_mul_u32_u24_sdwa v8, v132, v8 dst_sel:DWORD dst_unused:UNUSED_PAD src0_sel:WORD_0 src1_sel:DWORD
	v_lshrrev_b32_e32 v138, 19, v8
	v_mul_lo_u16 v8, v138, 10
	v_sub_nc_u16 v139, v132, v8
	v_mul_lo_u16 v8, 0x90, v139
	v_and_b32_e32 v8, 0xffff, v8
	v_add_co_u32 v8, s24, s10, v8
	v_add_co_ci_u32_e64 v9, null, s11, 0, s24
	s_clause 0x1
	global_load_dwordx4 v[56:59], v[8:9], off
	global_load_dwordx4 v[66:69], v[8:9], off offset:16
	s_waitcnt vmcnt(1)
	buffer_store_dword v56, off, s[36:39], 0 offset:784 ; 4-byte Folded Spill
	buffer_store_dword v57, off, s[36:39], 0 offset:788 ; 4-byte Folded Spill
	;; [unrolled: 1-line block ×4, first 2 shown]
	s_waitcnt vmcnt(0)
	buffer_store_dword v66, off, s[36:39], 0 offset:800 ; 4-byte Folded Spill
	buffer_store_dword v67, off, s[36:39], 0 offset:804 ; 4-byte Folded Spill
	;; [unrolled: 1-line block ×4, first 2 shown]
	v_mul_f64 v[10:11], v[18:19], v[58:59]
	v_fma_f64 v[128:129], v[16:17], v[56:57], -v[10:11]
	v_mul_f64 v[10:11], v[16:17], v[58:59]
	v_fma_f64 v[54:55], v[18:19], v[56:57], v[10:11]
	global_load_dwordx4 v[16:19], v[8:9], off offset:32
	v_mul_f64 v[10:11], v[64:65], v[68:69]
	s_waitcnt vmcnt(0)
	buffer_store_dword v16, off, s[36:39], 0 offset:816 ; 4-byte Folded Spill
	buffer_store_dword v17, off, s[36:39], 0 offset:820 ; 4-byte Folded Spill
	;; [unrolled: 1-line block ×4, first 2 shown]
	v_fma_f64 v[56:57], v[62:63], v[66:67], -v[10:11]
	v_mul_f64 v[10:11], v[62:63], v[68:69]
	v_fma_f64 v[58:59], v[64:65], v[66:67], v[10:11]
	global_load_dwordx4 v[64:67], v[8:9], off offset:48
	v_mul_f64 v[10:11], v[80:81], v[18:19]
	v_fma_f64 v[62:63], v[78:79], v[16:17], -v[10:11]
	v_mul_f64 v[10:11], v[78:79], v[18:19]
	v_fma_f64 v[60:61], v[80:81], v[16:17], v[10:11]
	s_waitcnt vmcnt(0)
	v_mov_b32_e32 v16, v64
	v_mov_b32_e32 v17, v65
	v_mov_b32_e32 v18, v66
	v_mov_b32_e32 v19, v67
	buffer_store_dword v16, off, s[36:39], 0 offset:832 ; 4-byte Folded Spill
	buffer_store_dword v17, off, s[36:39], 0 offset:836 ; 4-byte Folded Spill
	;; [unrolled: 1-line block ×4, first 2 shown]
	v_mul_f64 v[10:11], v[72:73], v[18:19]
	v_fma_f64 v[64:65], v[70:71], v[16:17], -v[10:11]
	v_mul_f64 v[10:11], v[70:71], v[18:19]
	v_fma_f64 v[66:67], v[72:73], v[16:17], v[10:11]
	s_clause 0x1
	global_load_dwordx4 v[16:19], v[8:9], off offset:64
	global_load_dwordx4 v[78:81], v[8:9], off offset:80
	s_waitcnt vmcnt(1)
	buffer_store_dword v16, off, s[36:39], 0 offset:848 ; 4-byte Folded Spill
	buffer_store_dword v17, off, s[36:39], 0 offset:852 ; 4-byte Folded Spill
	buffer_store_dword v18, off, s[36:39], 0 offset:856 ; 4-byte Folded Spill
	buffer_store_dword v19, off, s[36:39], 0 offset:860 ; 4-byte Folded Spill
	s_waitcnt vmcnt(0)
	buffer_store_dword v78, off, s[36:39], 0 offset:864 ; 4-byte Folded Spill
	buffer_store_dword v79, off, s[36:39], 0 offset:868 ; 4-byte Folded Spill
	buffer_store_dword v80, off, s[36:39], 0 offset:872 ; 4-byte Folded Spill
	buffer_store_dword v81, off, s[36:39], 0 offset:876 ; 4-byte Folded Spill
	v_mul_f64 v[10:11], v[84:85], v[18:19]
	v_fma_f64 v[70:71], v[82:83], v[16:17], -v[10:11]
	v_mul_f64 v[10:11], v[82:83], v[18:19]
	v_fma_f64 v[68:69], v[84:85], v[16:17], v[10:11]
	global_load_dwordx4 v[16:19], v[8:9], off offset:96
	v_mul_f64 v[10:11], v[76:77], v[80:81]
	s_waitcnt vmcnt(0)
	buffer_store_dword v16, off, s[36:39], 0 offset:880 ; 4-byte Folded Spill
	buffer_store_dword v17, off, s[36:39], 0 offset:884 ; 4-byte Folded Spill
	;; [unrolled: 1-line block ×4, first 2 shown]
	v_fma_f64 v[72:73], v[74:75], v[78:79], -v[10:11]
	v_mul_f64 v[10:11], v[74:75], v[80:81]
	global_load_dwordx4 v[80:83], v[8:9], off offset:112
	v_fma_f64 v[74:75], v[76:77], v[78:79], v[10:11]
	v_mul_f64 v[10:11], v[142:143], v[18:19]
	v_fma_f64 v[78:79], v[140:141], v[16:17], -v[10:11]
	v_mul_f64 v[10:11], v[140:141], v[18:19]
	v_fma_f64 v[76:77], v[142:143], v[16:17], v[10:11]
	s_waitcnt vmcnt(0)
	v_mov_b32_e32 v16, v80
	v_mov_b32_e32 v17, v81
	;; [unrolled: 1-line block ×4, first 2 shown]
	buffer_store_dword v16, off, s[36:39], 0 offset:896 ; 4-byte Folded Spill
	buffer_store_dword v17, off, s[36:39], 0 offset:900 ; 4-byte Folded Spill
	;; [unrolled: 1-line block ×4, first 2 shown]
	v_mul_f64 v[10:11], v[6:7], v[18:19]
	v_fma_f64 v[80:81], v[4:5], v[16:17], -v[10:11]
	v_mul_f64 v[4:5], v[4:5], v[18:19]
	v_add_f64 v[10:11], v[22:23], v[28:29]
	v_fma_f64 v[82:83], v[6:7], v[16:17], v[4:5]
	global_load_dwordx4 v[6:9], v[8:9], off offset:128
	v_add_f64 v[10:11], v[10:11], v[36:37]
	s_waitcnt vmcnt(0)
	buffer_store_dword v6, off, s[36:39], 0 offset:912 ; 4-byte Folded Spill
	buffer_store_dword v7, off, s[36:39], 0 offset:916 ; 4-byte Folded Spill
	buffer_store_dword v8, off, s[36:39], 0 offset:920 ; 4-byte Folded Spill
	buffer_store_dword v9, off, s[36:39], 0 offset:924 ; 4-byte Folded Spill
	v_add_f64 v[10:11], v[10:11], v[44:45]
	v_add_f64 v[10:11], v[10:11], v[124:125]
	s_waitcnt lgkmcnt(0)
	v_mul_f64 v[4:5], v[14:15], v[8:9]
	v_fma_f64 v[86:87], v[12:13], v[6:7], -v[4:5]
	v_mul_f64 v[4:5], v[12:13], v[8:9]
	v_add_f64 v[8:9], v[32:33], v[40:41]
	v_fma_f64 v[84:85], v[14:15], v[6:7], v[4:5]
	ds_read_b128 v[4:7], v52
	ds_read_b128 v[140:143], v52 offset:1920
	s_waitcnt lgkmcnt(0)
	s_waitcnt_vscnt null, 0x0
	s_barrier
	buffer_gl0_inv
	v_fma_f64 v[144:145], v[8:9], -0.5, v[4:5]
	v_add_f64 v[8:9], v[24:25], v[48:49]
	v_fma_f64 v[146:147], v[8:9], -0.5, v[4:5]
	v_add_f64 v[8:9], v[34:35], v[42:43]
	v_add_f64 v[4:5], v[4:5], v[24:25]
	v_fma_f64 v[148:149], v[8:9], -0.5, v[6:7]
	v_add_f64 v[8:9], v[26:27], v[50:51]
	;; [unrolled: 3-line block ×3, first 2 shown]
	v_add_f64 v[8:9], v[20:21], v[30:31]
	v_add_f64 v[4:5], v[4:5], v[40:41]
	;; [unrolled: 1-line block ×11, first 2 shown]
	v_add_f64 v[8:9], v[12:13], -v[8:9]
	v_add_f64 v[10:11], v[14:15], -v[10:11]
	;; [unrolled: 1-line block ×7, first 2 shown]
	v_add_f64 v[152:153], v[12:13], v[14:15]
	v_add_f64 v[12:13], v[26:27], -v[34:35]
	v_add_f64 v[14:15], v[50:51], -v[42:43]
	;; [unrolled: 1-line block ×5, first 2 shown]
	v_add_f64 v[24:25], v[24:25], v[32:33]
	v_add_f64 v[50:51], v[90:91], v[96:97]
	;; [unrolled: 1-line block ×3, first 2 shown]
	v_add_f64 v[12:13], v[30:31], -v[38:39]
	v_add_f64 v[14:15], v[126:127], -v[46:47]
	v_add_f64 v[26:27], v[26:27], v[34:35]
	v_add_f64 v[50:51], v[50:51], v[104:105]
	;; [unrolled: 1-line block ×3, first 2 shown]
	v_add_f64 v[12:13], v[28:29], -v[36:37]
	v_add_f64 v[14:15], v[124:125], -v[44:45]
	v_add_f64 v[50:51], v[50:51], v[112:113]
	v_add_f64 v[158:159], v[12:13], v[14:15]
	;; [unrolled: 1-line block ×3, first 2 shown]
	v_add_f64 v[38:39], v[38:39], -v[30:31]
	v_add_f64 v[30:31], v[30:31], v[126:127]
	v_add_f64 v[50:51], v[50:51], v[120:121]
	v_fma_f64 v[161:162], v[12:13], -0.5, v[20:21]
	v_add_f64 v[12:13], v[36:37], v[44:45]
	v_add_f64 v[36:37], v[36:37], -v[28:29]
	v_add_f64 v[28:29], v[28:29], v[124:125]
	v_fma_f64 v[32:33], v[30:31], -0.5, v[20:21]
	v_add_f64 v[34:35], v[38:39], v[40:41]
	v_fma_f64 v[14:15], v[169:170], s[14:15], v[161:162]
	v_fma_f64 v[163:164], v[12:13], -0.5, v[22:23]
	v_add_f64 v[36:37], v[36:37], v[42:43]
	v_fma_f64 v[44:45], v[28:29], -0.5, v[22:23]
	v_fma_f64 v[22:23], v[171:172], s[16:17], v[32:33]
	v_fma_f64 v[32:33], v[171:172], s[14:15], v[32:33]
	;; [unrolled: 1-line block ×15, first 2 shown]
	v_add_f64 v[167:168], v[106:107], -v[114:115]
	v_fma_f64 v[12:13], v[158:159], s[8:9], v[12:13]
	v_fma_f64 v[20:21], v[36:37], s[8:9], v[20:21]
	;; [unrolled: 1-line block ×3, first 2 shown]
	v_add_f64 v[165:166], v[98:99], -v[122:123]
	v_mul_f64 v[16:17], v[12:13], s[6:7]
	v_mul_f64 v[28:29], v[20:21], s[14:15]
	v_fma_f64 v[34:35], v[36:37], s[8:9], v[34:35]
	v_mul_f64 v[36:37], v[32:33], s[18:19]
	v_fma_f64 v[173:174], v[14:15], s[22:23], v[16:17]
	v_fma_f64 v[38:39], v[22:23], s[8:9], v[28:29]
	v_mul_f64 v[22:23], v[22:23], s[16:17]
	v_fma_f64 v[28:29], v[181:182], s[14:15], v[150:151]
	v_mul_f64 v[14:15], v[14:15], s[12:13]
	v_fma_f64 v[16:17], v[179:180], s[16:17], v[148:149]
	v_fma_f64 v[22:23], v[20:21], s[8:9], v[22:23]
	;; [unrolled: 1-line block ×12, first 2 shown]
	v_add_f64 v[30:31], v[40:41], v[22:23]
	v_add_f64 v[22:23], v[40:41], -v[22:23]
	v_fma_f64 v[40:41], v[34:35], s[14:15], v[36:37]
	v_mul_f64 v[34:35], v[34:35], s[18:19]
	v_fma_f64 v[12:13], v[152:153], s[8:9], v[12:13]
	v_add_f64 v[18:19], v[183:184], v[14:15]
	v_add_f64 v[14:15], v[183:184], -v[14:15]
	v_add_f64 v[28:29], v[20:21], v[38:39]
	v_add_f64 v[20:21], v[20:21], -v[38:39]
	v_fma_f64 v[38:39], v[177:178], s[14:15], v[146:147]
	v_fma_f64 v[32:33], v[32:33], s[16:17], v[34:35]
	;; [unrolled: 1-line block ×3, first 2 shown]
	v_add_f64 v[16:17], v[12:13], v[173:174]
	v_add_f64 v[12:13], v[12:13], -v[173:174]
	v_add_f64 v[173:174], v[94:95], -v[118:119]
	v_fma_f64 v[38:39], v[175:176], s[12:13], v[38:39]
	v_add_f64 v[175:176], v[102:103], -v[110:111]
	v_fma_f64 v[34:35], v[177:178], s[12:13], v[34:35]
	;; [unrolled: 2-line block ×3, first 2 shown]
	v_fma_f64 v[38:39], v[181:182], s[16:17], v[150:151]
	v_fma_f64 v[34:35], v[152:153], s[8:9], v[34:35]
	v_add_f64 v[36:37], v[24:25], v[40:41]
	v_fma_f64 v[38:39], v[179:180], s[6:7], v[38:39]
	v_add_f64 v[24:25], v[24:25], -v[40:41]
	v_fma_f64 v[40:41], v[179:180], s[14:15], v[148:149]
	v_add_f64 v[179:180], v[100:101], -v[108:109]
	v_fma_f64 v[26:27], v[26:27], s[8:9], v[38:39]
	v_fma_f64 v[40:41], v[181:182], s[6:7], v[40:41]
	v_add_f64 v[38:39], v[26:27], v[32:33]
	v_add_f64 v[26:27], v[26:27], -v[32:33]
	v_fma_f64 v[32:33], v[169:170], s[16:17], v[161:162]
	v_fma_f64 v[44:45], v[154:155], s[8:9], v[40:41]
	v_fma_f64 v[40:41], v[158:159], s[8:9], v[42:43]
	v_add_f64 v[169:170], v[96:97], -v[120:121]
	v_fma_f64 v[32:33], v[171:172], s[12:13], v[32:33]
	v_add_f64 v[171:172], v[104:105], -v[112:113]
	v_fma_f64 v[32:33], v[156:157], s[8:9], v[32:33]
	v_mul_f64 v[42:43], v[32:33], s[20:21]
	v_fma_f64 v[46:47], v[40:41], s[6:7], v[42:43]
	v_mul_f64 v[40:41], v[40:41], s[20:21]
	v_fma_f64 v[48:49], v[32:33], s[12:13], v[40:41]
	v_add_f64 v[40:41], v[34:35], v[46:47]
	v_add_f64 v[32:33], v[34:35], -v[46:47]
	v_add_f64 v[46:47], v[142:143], v[94:95]
	v_add_f64 v[42:43], v[44:45], v[48:49]
	v_add_f64 v[34:35], v[44:45], -v[48:49]
	v_add_f64 v[44:45], v[100:101], v[108:109]
	v_add_f64 v[48:49], v[88:89], v[98:99]
	v_add_f64 v[46:47], v[46:47], v[102:103]
	v_fma_f64 v[144:145], v[44:45], -0.5, v[140:141]
	v_add_f64 v[44:45], v[92:93], v[116:117]
	v_add_f64 v[48:49], v[48:49], v[106:107]
	v_add_f64 v[46:47], v[46:47], v[110:111]
	v_fma_f64 v[146:147], v[44:45], -0.5, v[140:141]
	;; [unrolled: 4-line block ×3, first 2 shown]
	v_add_f64 v[44:45], v[94:95], v[118:119]
	v_add_f64 v[48:49], v[48:49], v[122:123]
	v_add_f64 v[46:47], v[126:127], v[50:51]
	v_add_f64 v[50:51], v[126:127], -v[50:51]
	v_add_f64 v[126:127], v[116:117], -v[108:109]
	v_fma_f64 v[150:151], v[44:45], -0.5, v[142:143]
	v_add_f64 v[44:45], v[140:141], v[92:93]
	v_add_f64 v[44:45], v[44:45], v[100:101]
	v_add_f64 v[44:45], v[44:45], v[108:109]
	v_add_f64 v[124:125], v[44:45], v[116:117]
	v_add_f64 v[44:45], v[124:125], v[48:49]
	v_add_f64 v[48:49], v[124:125], -v[48:49]
	v_add_f64 v[124:125], v[92:93], -v[100:101]
	;; [unrolled: 1-line block ×5, first 2 shown]
	v_add_f64 v[152:153], v[124:125], v[126:127]
	v_add_f64 v[124:125], v[94:95], -v[102:103]
	v_add_f64 v[126:127], v[118:119], -v[110:111]
	;; [unrolled: 1-line block ×5, first 2 shown]
	v_add_f64 v[100:101], v[92:93], v[100:101]
	v_add_f64 v[154:155], v[124:125], v[126:127]
	v_add_f64 v[124:125], v[98:99], -v[106:107]
	v_add_f64 v[126:127], v[122:123], -v[114:115]
	v_add_f64 v[102:103], v[94:95], v[102:103]
	v_add_f64 v[156:157], v[124:125], v[126:127]
	v_add_f64 v[124:125], v[96:97], -v[104:105]
	v_add_f64 v[126:127], v[120:121], -v[112:113]
	v_add_f64 v[158:159], v[124:125], v[126:127]
	v_add_f64 v[124:125], v[106:107], v[114:115]
	v_add_f64 v[106:107], v[106:107], -v[98:99]
	v_add_f64 v[98:99], v[98:99], v[122:123]
	v_fma_f64 v[161:162], v[124:125], -0.5, v[88:89]
	v_add_f64 v[124:125], v[104:105], v[112:113]
	v_add_f64 v[104:105], v[104:105], -v[96:97]
	v_add_f64 v[96:97], v[96:97], v[120:121]
	v_fma_f64 v[98:99], v[98:99], -0.5, v[88:89]
	v_add_f64 v[106:107], v[106:107], v[108:109]
	v_fma_f64 v[126:127], v[169:170], s[14:15], v[161:162]
	v_fma_f64 v[163:164], v[124:125], -0.5, v[90:91]
	v_add_f64 v[104:105], v[104:105], v[110:111]
	v_fma_f64 v[96:97], v[96:97], -0.5, v[90:91]
	v_fma_f64 v[90:91], v[171:172], s[16:17], v[98:99]
	v_fma_f64 v[98:99], v[171:172], s[14:15], v[98:99]
	v_fma_f64 v[126:127], v[171:172], s[6:7], v[126:127]
	v_fma_f64 v[124:125], v[165:166], s[16:17], v[163:164]
	v_fma_f64 v[88:89], v[167:168], s[14:15], v[96:97]
	v_fma_f64 v[90:91], v[169:170], s[6:7], v[90:91]
	v_fma_f64 v[98:99], v[169:170], s[12:13], v[98:99]
	v_fma_f64 v[96:97], v[167:168], s[16:17], v[96:97]
	v_fma_f64 v[126:127], v[156:157], s[8:9], v[126:127]
	v_fma_f64 v[124:125], v[167:168], s[12:13], v[124:125]
	v_fma_f64 v[88:89], v[165:166], s[12:13], v[88:89]
	v_fma_f64 v[90:91], v[106:107], s[8:9], v[90:91]
	v_fma_f64 v[98:99], v[106:107], s[8:9], v[98:99]
	v_fma_f64 v[96:97], v[165:166], s[6:7], v[96:97]
	v_fma_f64 v[124:125], v[158:159], s[8:9], v[124:125]
	v_fma_f64 v[88:89], v[104:105], s[8:9], v[88:89]
	v_fma_f64 v[96:97], v[104:105], s[8:9], v[96:97]
	v_mul_f64 v[104:105], v[98:99], s[18:19]
	v_mul_f64 v[140:141], v[124:125], s[6:7]
	;; [unrolled: 1-line block ×3, first 2 shown]
	v_fma_f64 v[104:105], v[96:97], s[14:15], v[104:105]
	v_mul_f64 v[96:97], v[96:97], s[18:19]
	v_fma_f64 v[140:141], v[126:127], s[22:23], v[140:141]
	v_mul_f64 v[126:127], v[126:127], s[12:13]
	v_fma_f64 v[92:93], v[90:91], s[8:9], v[92:93]
	v_mul_f64 v[90:91], v[90:91], s[16:17]
	v_fma_f64 v[106:107], v[98:99], s[16:17], v[96:97]
	v_fma_f64 v[142:143], v[124:125], s[22:23], v[126:127]
	;; [unrolled: 1-line block ×15, first 2 shown]
	v_add_f64 v[124:125], v[181:182], v[140:141]
	v_add_f64 v[140:141], v[181:182], -v[140:141]
	v_add_f64 v[88:89], v[108:109], v[92:93]
	v_add_f64 v[92:93], v[108:109], -v[92:93]
	v_fma_f64 v[108:109], v[175:176], s[14:15], v[146:147]
	v_add_f64 v[90:91], v[110:111], v[94:95]
	v_add_f64 v[94:95], v[110:111], -v[94:95]
	v_fma_f64 v[110:111], v[165:166], s[14:15], v[163:164]
	v_add_f64 v[165:166], v[62:63], -v[86:87]
	v_add_f64 v[126:127], v[183:184], v[142:143]
	v_add_f64 v[142:143], v[183:184], -v[142:143]
	v_fma_f64 v[108:109], v[173:174], s[12:13], v[108:109]
	v_fma_f64 v[110:111], v[167:168], s[6:7], v[110:111]
	v_add_f64 v[167:168], v[70:71], -v[78:79]
	v_fma_f64 v[100:101], v[100:101], s[8:9], v[108:109]
	v_fma_f64 v[108:109], v[179:180], s[16:17], v[150:151]
	v_add_f64 v[96:97], v[100:101], v[104:105]
	v_fma_f64 v[108:109], v[177:178], s[6:7], v[108:109]
	v_add_f64 v[100:101], v[100:101], -v[104:105]
	v_fma_f64 v[104:105], v[169:170], s[16:17], v[161:162]
	v_add_f64 v[169:170], v[60:61], -v[84:85]
	v_fma_f64 v[102:103], v[102:103], s[8:9], v[108:109]
	v_fma_f64 v[108:109], v[177:178], s[14:15], v[148:149]
	;; [unrolled: 1-line block ×3, first 2 shown]
	v_add_f64 v[171:172], v[68:69], -v[76:77]
	v_add_f64 v[177:178], v[56:57], -v[80:81]
	v_add_f64 v[98:99], v[102:103], v[106:107]
	v_add_f64 v[102:103], v[102:103], -v[106:107]
	v_fma_f64 v[106:107], v[173:174], s[16:17], v[144:145]
	v_fma_f64 v[108:109], v[179:180], s[6:7], v[108:109]
	;; [unrolled: 1-line block ×3, first 2 shown]
	v_add_f64 v[173:174], v[58:59], -v[82:83]
	v_add_f64 v[179:180], v[64:65], -v[72:73]
	v_fma_f64 v[106:107], v[175:176], s[12:13], v[106:107]
	v_fma_f64 v[114:115], v[154:155], s[8:9], v[108:109]
	v_mul_f64 v[108:109], v[104:105], s[20:21]
	v_add_f64 v[175:176], v[66:67], -v[74:75]
	v_fma_f64 v[112:113], v[152:153], s[8:9], v[106:107]
	v_fma_f64 v[106:107], v[158:159], s[8:9], v[110:111]
	;; [unrolled: 1-line block ×3, first 2 shown]
	v_mul_f64 v[106:107], v[106:107], s[20:21]
	v_fma_f64 v[110:111], v[104:105], s[12:13], v[106:107]
	v_add_f64 v[104:105], v[112:113], v[108:109]
	v_add_f64 v[108:109], v[112:113], -v[108:109]
	v_add_f64 v[112:113], v[64:65], v[72:73]
	v_add_f64 v[106:107], v[114:115], v[110:111]
	v_add_f64 v[110:111], v[114:115], -v[110:111]
	v_add_f64 v[114:115], v[54:55], v[60:61]
	v_fma_f64 v[144:145], v[112:113], -0.5, v[0:1]
	v_add_f64 v[112:113], v[56:57], v[80:81]
	v_add_f64 v[114:115], v[114:115], v[68:69]
	v_fma_f64 v[146:147], v[112:113], -0.5, v[0:1]
	v_add_f64 v[112:113], v[66:67], v[74:75]
	v_add_f64 v[0:1], v[0:1], v[56:57]
	v_add_f64 v[114:115], v[114:115], v[76:77]
	v_fma_f64 v[148:149], v[112:113], -0.5, v[2:3]
	v_add_f64 v[112:113], v[58:59], v[82:83]
	;; [unrolled: 4-line block ×3, first 2 shown]
	v_add_f64 v[112:113], v[128:129], v[62:63]
	v_add_f64 v[0:1], v[0:1], v[72:73]
	;; [unrolled: 1-line block ×11, first 2 shown]
	v_add_f64 v[112:113], v[116:117], -v[112:113]
	v_add_f64 v[114:115], v[118:119], -v[114:115]
	;; [unrolled: 1-line block ×7, first 2 shown]
	v_add_f64 v[152:153], v[116:117], v[118:119]
	v_add_f64 v[116:117], v[58:59], -v[66:67]
	v_add_f64 v[118:119], v[82:83], -v[74:75]
	;; [unrolled: 1-line block ×5, first 2 shown]
	v_add_f64 v[64:65], v[56:57], v[64:65]
	v_add_f64 v[154:155], v[116:117], v[118:119]
	v_add_f64 v[116:117], v[62:63], -v[70:71]
	v_add_f64 v[118:119], v[86:87], -v[78:79]
	v_add_f64 v[66:67], v[58:59], v[66:67]
	v_add_f64 v[156:157], v[116:117], v[118:119]
	v_add_f64 v[116:117], v[60:61], -v[68:69]
	v_add_f64 v[118:119], v[84:85], -v[76:77]
	v_add_f64 v[158:159], v[116:117], v[118:119]
	v_add_f64 v[116:117], v[70:71], v[78:79]
	v_add_f64 v[70:71], v[70:71], -v[62:63]
	v_add_f64 v[62:63], v[62:63], v[86:87]
	v_fma_f64 v[161:162], v[116:117], -0.5, v[128:129]
	v_add_f64 v[116:117], v[68:69], v[76:77]
	v_add_f64 v[68:69], v[68:69], -v[60:61]
	v_add_f64 v[60:61], v[60:61], v[84:85]
	v_fma_f64 v[62:63], v[62:63], -0.5, v[128:129]
	v_add_f64 v[70:71], v[70:71], v[72:73]
	v_mov_b32_e32 v129, v255
	v_fma_f64 v[118:119], v[169:170], s[14:15], v[161:162]
	v_fma_f64 v[163:164], v[116:117], -0.5, v[54:55]
	v_add_f64 v[68:69], v[68:69], v[74:75]
	v_fma_f64 v[76:77], v[60:61], -0.5, v[54:55]
	v_fma_f64 v[56:57], v[171:172], s[16:17], v[62:63]
	v_fma_f64 v[62:63], v[171:172], s[14:15], v[62:63]
	;; [unrolled: 1-line block ×16, first 2 shown]
	v_mul_f64 v[120:121], v[116:117], s[6:7]
	v_mul_f64 v[58:59], v[54:55], s[14:15]
	v_fma_f64 v[70:71], v[156:157], s[8:9], v[70:71]
	v_fma_f64 v[120:121], v[118:119], s[22:23], v[120:121]
	v_mul_f64 v[118:119], v[118:119], s[12:13]
	v_fma_f64 v[58:59], v[56:57], s[8:9], v[58:59]
	v_mul_f64 v[56:57], v[56:57], s[16:17]
	v_fma_f64 v[122:123], v[116:117], s[22:23], v[118:119]
	v_fma_f64 v[116:117], v[173:174], s[14:15], v[144:145]
	;; [unrolled: 1-line block ×14, first 2 shown]
	v_add_f64 v[116:117], v[181:182], v[120:121]
	v_add_f64 v[120:121], v[181:182], -v[120:121]
	v_add_f64 v[54:55], v[72:73], v[58:59]
	v_add_f64 v[58:59], v[72:73], -v[58:59]
	v_fma_f64 v[72:73], v[175:176], s[14:15], v[146:147]
	v_add_f64 v[56:57], v[74:75], v[60:61]
	v_add_f64 v[60:61], v[74:75], -v[60:61]
	v_add_f64 v[118:119], v[183:184], v[122:123]
	v_add_f64 v[122:123], v[183:184], -v[122:123]
	v_fma_f64 v[72:73], v[173:174], s[12:13], v[72:73]
	v_fma_f64 v[72:73], v[64:65], s[8:9], v[72:73]
	;; [unrolled: 1-line block ×6, first 2 shown]
	v_mul_f64 v[66:67], v[62:63], s[18:19]
	v_fma_f64 v[76:77], v[165:166], s[14:15], v[163:164]
	v_fma_f64 v[64:65], v[165:166], s[6:7], v[64:65]
	;; [unrolled: 1-line block ×5, first 2 shown]
	v_mul_f64 v[64:65], v[64:65], s[18:19]
	v_fma_f64 v[68:69], v[62:63], s[16:17], v[64:65]
	v_add_f64 v[62:63], v[72:73], v[66:67]
	v_add_f64 v[66:67], v[72:73], -v[66:67]
	v_fma_f64 v[72:73], v[173:174], s[16:17], v[144:145]
	v_add_f64 v[64:65], v[74:75], v[68:69]
	v_add_f64 v[68:69], v[74:75], -v[68:69]
	v_fma_f64 v[74:75], v[177:178], s[14:15], v[148:149]
	v_fma_f64 v[72:73], v[175:176], s[12:13], v[72:73]
	v_fma_f64 v[74:75], v[179:180], s[6:7], v[74:75]
	v_fma_f64 v[78:79], v[152:153], s[8:9], v[72:73]
	v_fma_f64 v[72:73], v[158:159], s[8:9], v[76:77]
	v_fma_f64 v[80:81], v[154:155], s[8:9], v[74:75]
	v_mul_f64 v[74:75], v[70:71], s[20:21]
	v_fma_f64 v[74:75], v[72:73], s[6:7], v[74:75]
	v_mul_f64 v[72:73], v[72:73], s[20:21]
	v_fma_f64 v[76:77], v[70:71], s[12:13], v[72:73]
	v_add_f64 v[70:71], v[78:79], v[74:75]
	v_add_f64 v[74:75], v[78:79], -v[74:75]
	v_mov_b32_e32 v78, 0x64
	v_mul_u32_u24_sdwa v53, v53, v78 dst_sel:DWORD dst_unused:UNUSED_PAD src0_sel:WORD_0 src1_sel:DWORD
	v_add_lshl_u32 v254, v53, v137, 4
	ds_write_b128 v254, v[4:7]
	ds_write_b128 v254, v[16:19] offset:160
	ds_write_b128 v254, v[28:31] offset:320
	;; [unrolled: 1-line block ×9, first 2 shown]
	v_mul_u32_u24_sdwa v4, v135, v78 dst_sel:DWORD dst_unused:UNUSED_PAD src0_sel:WORD_0 src1_sel:DWORD
	v_mov_b32_e32 v53, 0x147b
	v_add_f64 v[72:73], v[80:81], v[76:77]
	v_add_f64 v[76:77], v[80:81], -v[76:77]
	v_add_lshl_u32 v253, v4, v136, 4
	v_mad_u16 v4, 0x64, v138, v139
	ds_write_b128 v253, v[44:47]
	ds_write_b128 v253, v[124:127] offset:160
	ds_write_b128 v253, v[88:91] offset:320
	;; [unrolled: 1-line block ×9, first 2 shown]
	v_lshlrev_b32_sdwa v188, v131, v4 dst_sel:DWORD dst_unused:UNUSED_PAD src0_sel:DWORD src1_sel:WORD_0
	ds_write_b128 v188, v[0:3]
	ds_write_b128 v188, v[116:119] offset:160
	ds_write_b128 v188, v[54:57] offset:320
	;; [unrolled: 1-line block ×8, first 2 shown]
	v_add_nc_u32_e32 v0, 0xffffff9c, v255
	buffer_store_dword v129, off, s[36:39], 0 offset:1248 ; 4-byte Folded Spill
	ds_write_b128 v188, v[74:77] offset:1440
	v_cndmask_b32_e32 v102, v0, v255, vcc_lo
	s_waitcnt lgkmcnt(0)
	s_waitcnt_vscnt null, 0x0
	s_barrier
	buffer_gl0_inv
	v_mul_i32_i24_e32 v0, 0x50, v102
	v_mul_hi_i32_i24_e32 v1, 0x50, v102
	v_add_co_u32 v12, vcc_lo, s10, v0
	v_add_co_ci_u32_e32 v13, vcc_lo, s11, v1, vcc_lo
	s_clause 0x1
	global_load_dwordx4 v[16:19], v[12:13], off offset:1440
	global_load_dwordx4 v[24:27], v[12:13], off offset:1456
	ds_read_b128 v[4:7], v52 offset:9600
	ds_read_b128 v[0:3], v52 offset:7680
	v_cmp_lt_u16_e32 vcc_lo, 0x63, v130
	s_waitcnt vmcnt(1) lgkmcnt(1)
	v_mul_f64 v[8:9], v[6:7], v[18:19]
	v_fma_f64 v[14:15], v[4:5], v[16:17], -v[8:9]
	buffer_store_dword v16, off, s[36:39], 0 offset:928 ; 4-byte Folded Spill
	buffer_store_dword v17, off, s[36:39], 0 offset:932 ; 4-byte Folded Spill
	;; [unrolled: 1-line block ×4, first 2 shown]
	v_mul_f64 v[4:5], v[4:5], v[18:19]
	s_waitcnt vmcnt(0)
	v_mov_b32_e32 v18, v24
	v_mov_b32_e32 v19, v25
	;; [unrolled: 1-line block ×4, first 2 shown]
	v_fma_f64 v[22:23], v[6:7], v[16:17], v[4:5]
	ds_read_b128 v[4:7], v52 offset:19200
	ds_read_b128 v[8:11], v52 offset:21120
	buffer_store_dword v18, off, s[36:39], 0 offset:944 ; 4-byte Folded Spill
	buffer_store_dword v19, off, s[36:39], 0 offset:948 ; 4-byte Folded Spill
	;; [unrolled: 1-line block ×4, first 2 shown]
	s_waitcnt lgkmcnt(1)
	v_mul_f64 v[16:17], v[6:7], v[20:21]
	v_fma_f64 v[24:25], v[4:5], v[18:19], -v[16:17]
	v_mul_f64 v[4:5], v[4:5], v[20:21]
	v_fma_f64 v[32:33], v[6:7], v[18:19], v[4:5]
	global_load_dwordx4 v[18:21], v[12:13], off offset:1472
	s_waitcnt vmcnt(0)
	buffer_store_dword v18, off, s[36:39], 0 offset:960 ; 4-byte Folded Spill
	buffer_store_dword v19, off, s[36:39], 0 offset:964 ; 4-byte Folded Spill
	;; [unrolled: 1-line block ×4, first 2 shown]
	global_load_dwordx4 v[26:29], v[12:13], off offset:1488
	ds_read_b128 v[4:7], v52 offset:28800
	ds_read_b128 v[111:114], v52 offset:26880
	s_waitcnt lgkmcnt(1)
	v_mul_f64 v[16:17], v[6:7], v[20:21]
	v_fma_f64 v[62:63], v[4:5], v[18:19], -v[16:17]
	v_mul_f64 v[4:5], v[4:5], v[20:21]
	v_fma_f64 v[54:55], v[6:7], v[18:19], v[4:5]
	ds_read_b128 v[4:7], v52 offset:38400
	ds_read_b128 v[18:21], v52 offset:40320
	s_waitcnt vmcnt(0)
	buffer_store_dword v26, off, s[36:39], 0 offset:976 ; 4-byte Folded Spill
	buffer_store_dword v27, off, s[36:39], 0 offset:980 ; 4-byte Folded Spill
	buffer_store_dword v28, off, s[36:39], 0 offset:984 ; 4-byte Folded Spill
	buffer_store_dword v29, off, s[36:39], 0 offset:988 ; 4-byte Folded Spill
	s_waitcnt lgkmcnt(1)
	v_mul_f64 v[16:17], v[6:7], v[28:29]
	v_fma_f64 v[72:73], v[4:5], v[26:27], -v[16:17]
	v_mul_f64 v[4:5], v[4:5], v[28:29]
	v_fma_f64 v[78:79], v[6:7], v[26:27], v[4:5]
	global_load_dwordx4 v[26:29], v[12:13], off offset:1504
	v_mul_lo_u16 v4, v134, 41
	v_lshrrev_b16 v103, 12, v4
	v_mul_lo_u16 v4, 0x64, v103
	v_sub_nc_u16 v4, v133, v4
	v_and_b32_e32 v104, 0xff, v4
	v_mad_u64_u32 v[12:13], null, 0x50, v104, s[10:11]
	global_load_dwordx4 v[34:37], v[12:13], off offset:1440
	ds_read_b128 v[4:7], v52 offset:48000
	ds_read_b128 v[115:118], v52 offset:46080
	s_waitcnt vmcnt(1) lgkmcnt(1)
	v_mul_f64 v[16:17], v[6:7], v[28:29]
	v_fma_f64 v[123:124], v[4:5], v[26:27], -v[16:17]
	buffer_store_dword v26, off, s[36:39], 0 offset:992 ; 4-byte Folded Spill
	buffer_store_dword v27, off, s[36:39], 0 offset:996 ; 4-byte Folded Spill
	;; [unrolled: 1-line block ×4, first 2 shown]
	v_mul_f64 v[4:5], v[4:5], v[28:29]
	v_fma_f64 v[125:126], v[6:7], v[26:27], v[4:5]
	ds_read_b128 v[4:7], v52 offset:11520
	ds_read_b128 v[26:29], v52 offset:13440
	s_waitcnt vmcnt(0) lgkmcnt(1)
	v_mul_f64 v[16:17], v[6:7], v[36:37]
	v_fma_f64 v[16:17], v[4:5], v[34:35], -v[16:17]
	buffer_store_dword v34, off, s[36:39], 0 offset:1008 ; 4-byte Folded Spill
	buffer_store_dword v35, off, s[36:39], 0 offset:1012 ; 4-byte Folded Spill
	;; [unrolled: 1-line block ×4, first 2 shown]
	global_load_dwordx4 v[42:45], v[12:13], off offset:1456
	s_waitcnt vmcnt(0)
	buffer_store_dword v42, off, s[36:39], 0 offset:1040 ; 4-byte Folded Spill
	buffer_store_dword v43, off, s[36:39], 0 offset:1044 ; 4-byte Folded Spill
	;; [unrolled: 1-line block ×4, first 2 shown]
	global_load_dwordx4 v[38:41], v[12:13], off offset:1472
	v_mul_f64 v[4:5], v[4:5], v[36:37]
	s_waitcnt vmcnt(0)
	buffer_store_dword v38, off, s[36:39], 0 offset:1024 ; 4-byte Folded Spill
	buffer_store_dword v39, off, s[36:39], 0 offset:1028 ; 4-byte Folded Spill
	;; [unrolled: 1-line block ×4, first 2 shown]
	v_fma_f64 v[30:31], v[6:7], v[34:35], v[4:5]
	v_mul_f64 v[4:5], v[10:11], v[44:45]
	v_fma_f64 v[36:37], v[8:9], v[42:43], -v[4:5]
	v_mul_f64 v[4:5], v[8:9], v[44:45]
	v_fma_f64 v[44:45], v[10:11], v[42:43], v[4:5]
	ds_read_b128 v[4:7], v52 offset:30720
	ds_read_b128 v[8:11], v52 offset:32640
	s_waitcnt lgkmcnt(1)
	v_mul_f64 v[34:35], v[6:7], v[40:41]
	v_fma_f64 v[56:57], v[4:5], v[38:39], -v[34:35]
	v_mul_f64 v[4:5], v[4:5], v[40:41]
	v_fma_f64 v[100:101], v[6:7], v[38:39], v[4:5]
	global_load_dwordx4 v[38:41], v[12:13], off offset:1488
	s_waitcnt vmcnt(0)
	buffer_store_dword v38, off, s[36:39], 0 offset:1056 ; 4-byte Folded Spill
	buffer_store_dword v39, off, s[36:39], 0 offset:1060 ; 4-byte Folded Spill
	;; [unrolled: 1-line block ×4, first 2 shown]
	global_load_dwordx4 v[46:49], v[12:13], off offset:1504
	v_mul_f64 v[4:5], v[20:21], v[40:41]
	v_fma_f64 v[82:83], v[18:19], v[38:39], -v[4:5]
	v_mul_f64 v[4:5], v[18:19], v[40:41]
	v_fma_f64 v[86:87], v[20:21], v[38:39], v[4:5]
	ds_read_b128 v[4:7], v52 offset:49920
	ds_read_b128 v[38:41], v52 offset:51840
	s_waitcnt vmcnt(0) lgkmcnt(1)
	v_mul_f64 v[12:13], v[6:7], v[48:49]
	v_fma_f64 v[98:99], v[4:5], v[46:47], -v[12:13]
	buffer_store_dword v46, off, s[36:39], 0 offset:1072 ; 4-byte Folded Spill
	buffer_store_dword v47, off, s[36:39], 0 offset:1076 ; 4-byte Folded Spill
	;; [unrolled: 1-line block ×4, first 2 shown]
	v_mul_f64 v[4:5], v[4:5], v[48:49]
	v_fma_f64 v[96:97], v[6:7], v[46:47], v[4:5]
	v_lshrrev_b16 v4, 2, v132
	v_mul_u32_u24_sdwa v4, v4, v53 dst_sel:DWORD dst_unused:UNUSED_PAD src0_sel:WORD_0 src1_sel:DWORD
	v_lshrrev_b32_e32 v105, 17, v4
	v_mul_lo_u16 v4, 0x64, v105
	v_sub_nc_u16 v106, v132, v4
	v_mul_lo_u16 v4, 0x50, v106
	v_and_b32_e32 v4, 0xffff, v4
	v_add_co_u32 v34, s24, s10, v4
	v_add_co_ci_u32_e64 v35, null, s11, 0, s24
	s_clause 0x1
	global_load_dwordx4 v[46:49], v[34:35], off offset:1440
	global_load_dwordx4 v[58:61], v[34:35], off offset:1456
	s_waitcnt vmcnt(1)
	buffer_store_dword v46, off, s[36:39], 0 offset:1088 ; 4-byte Folded Spill
	buffer_store_dword v47, off, s[36:39], 0 offset:1092 ; 4-byte Folded Spill
	;; [unrolled: 1-line block ×4, first 2 shown]
	v_mul_f64 v[4:5], v[28:29], v[48:49]
	v_fma_f64 v[12:13], v[26:27], v[46:47], -v[4:5]
	v_mul_f64 v[4:5], v[26:27], v[48:49]
	v_fma_f64 v[18:19], v[28:29], v[46:47], v[4:5]
	ds_read_b128 v[4:7], v52 offset:23040
	ds_read_b128 v[68:71], v52 offset:24960
	s_waitcnt vmcnt(0)
	buffer_store_dword v58, off, s[36:39], 0 offset:1104 ; 4-byte Folded Spill
	buffer_store_dword v59, off, s[36:39], 0 offset:1108 ; 4-byte Folded Spill
	;; [unrolled: 1-line block ×4, first 2 shown]
	s_waitcnt lgkmcnt(1)
	v_mul_f64 v[20:21], v[6:7], v[60:61]
	v_fma_f64 v[20:21], v[4:5], v[58:59], -v[20:21]
	v_mul_f64 v[4:5], v[4:5], v[60:61]
	v_fma_f64 v[26:27], v[6:7], v[58:59], v[4:5]
	global_load_dwordx4 v[58:61], v[34:35], off offset:1472
	s_waitcnt vmcnt(0)
	buffer_store_dword v58, off, s[36:39], 0 offset:1136 ; 4-byte Folded Spill
	buffer_store_dword v59, off, s[36:39], 0 offset:1140 ; 4-byte Folded Spill
	;; [unrolled: 1-line block ×4, first 2 shown]
	global_load_dwordx4 v[64:67], v[34:35], off offset:1488
	s_waitcnt vmcnt(0)
	buffer_store_dword v64, off, s[36:39], 0 offset:1120 ; 4-byte Folded Spill
	buffer_store_dword v65, off, s[36:39], 0 offset:1124 ; 4-byte Folded Spill
	;; [unrolled: 1-line block ×4, first 2 shown]
	v_mul_f64 v[4:5], v[10:11], v[60:61]
	v_fma_f64 v[48:49], v[8:9], v[58:59], -v[4:5]
	v_mul_f64 v[4:5], v[8:9], v[60:61]
	v_fma_f64 v[42:43], v[10:11], v[58:59], v[4:5]
	ds_read_b128 v[4:7], v52 offset:42240
	ds_read_b128 v[8:11], v52 offset:44160
	global_load_dwordx4 v[88:91], v[34:35], off offset:1504
	s_waitcnt vmcnt(0)
	buffer_store_dword v88, off, s[36:39], 0 offset:1152 ; 4-byte Folded Spill
	buffer_store_dword v89, off, s[36:39], 0 offset:1156 ; 4-byte Folded Spill
	buffer_store_dword v90, off, s[36:39], 0 offset:1160 ; 4-byte Folded Spill
	buffer_store_dword v91, off, s[36:39], 0 offset:1164 ; 4-byte Folded Spill
	s_waitcnt lgkmcnt(1)
	v_mul_f64 v[28:29], v[6:7], v[66:67]
	v_fma_f64 v[58:59], v[4:5], v[64:65], -v[28:29]
	v_mul_f64 v[4:5], v[4:5], v[66:67]
	v_fma_f64 v[66:67], v[6:7], v[64:65], v[4:5]
	v_add_nc_u16 v4, v130, 0x168
	v_lshrrev_b16 v5, 2, v4
	v_mul_u32_u24_sdwa v5, v5, v53 dst_sel:DWORD dst_unused:UNUSED_PAD src0_sel:WORD_0 src1_sel:DWORD
	v_lshrrev_b32_e32 v107, 17, v5
	v_mul_lo_u16 v5, 0x64, v107
	v_sub_nc_u16 v108, v4, v5
	v_mul_lo_u16 v4, 0x50, v108
	v_and_b32_e32 v4, 0xffff, v4
	v_add_co_u32 v28, s24, s10, v4
	v_add_co_ci_u32_e64 v29, null, s11, 0, s24
	global_load_dwordx4 v[74:77], v[28:29], off offset:1440
	v_mul_f64 v[4:5], v[40:41], v[90:91]
	v_fma_f64 v[127:128], v[38:39], v[88:89], -v[4:5]
	v_mul_f64 v[4:5], v[38:39], v[90:91]
	v_fma_f64 v[148:149], v[40:41], v[88:89], v[4:5]
	ds_read_b128 v[4:7], v52 offset:15360
	ds_read_b128 v[38:41], v52 offset:17280
	s_waitcnt vmcnt(0) lgkmcnt(1)
	v_mul_f64 v[34:35], v[6:7], v[76:77]
	v_fma_f64 v[34:35], v[4:5], v[74:75], -v[34:35]
	buffer_store_dword v74, off, s[36:39], 0 offset:1168 ; 4-byte Folded Spill
	buffer_store_dword v75, off, s[36:39], 0 offset:1172 ; 4-byte Folded Spill
	;; [unrolled: 1-line block ×4, first 2 shown]
	v_mul_f64 v[4:5], v[4:5], v[76:77]
	v_fma_f64 v[50:51], v[6:7], v[74:75], v[4:5]
	global_load_dwordx4 v[74:77], v[28:29], off offset:1456
	s_waitcnt vmcnt(0)
	buffer_store_dword v74, off, s[36:39], 0 offset:1200 ; 4-byte Folded Spill
	buffer_store_dword v75, off, s[36:39], 0 offset:1204 ; 4-byte Folded Spill
	;; [unrolled: 1-line block ×4, first 2 shown]
	global_load_dwordx4 v[88:91], v[28:29], off offset:1472
	s_waitcnt vmcnt(0)
	buffer_store_dword v88, off, s[36:39], 0 offset:1184 ; 4-byte Folded Spill
	buffer_store_dword v89, off, s[36:39], 0 offset:1188 ; 4-byte Folded Spill
	;; [unrolled: 1-line block ×4, first 2 shown]
	v_mul_f64 v[4:5], v[70:71], v[76:77]
	v_fma_f64 v[60:61], v[68:69], v[74:75], -v[4:5]
	v_mul_f64 v[4:5], v[68:69], v[76:77]
	v_fma_f64 v[68:69], v[70:71], v[74:75], v[4:5]
	ds_read_b128 v[4:7], v52 offset:34560
	ds_read_b128 v[119:122], v52 offset:36480
	s_waitcnt lgkmcnt(1)
	v_mul_f64 v[46:47], v[6:7], v[90:91]
	v_fma_f64 v[80:81], v[4:5], v[88:89], -v[46:47]
	v_mul_f64 v[4:5], v[4:5], v[90:91]
	global_load_dwordx4 v[90:93], v[28:29], off offset:1488
	s_waitcnt vmcnt(0)
	buffer_store_dword v90, off, s[36:39], 0 offset:1216 ; 4-byte Folded Spill
	buffer_store_dword v91, off, s[36:39], 0 offset:1220 ; 4-byte Folded Spill
	;; [unrolled: 1-line block ×4, first 2 shown]
	global_load_dwordx4 v[132:135], v[28:29], off offset:1504
	v_fma_f64 v[74:75], v[6:7], v[88:89], v[4:5]
	v_mul_f64 v[4:5], v[10:11], v[92:93]
	v_fma_f64 v[88:89], v[8:9], v[90:91], -v[4:5]
	v_mul_f64 v[4:5], v[8:9], v[92:93]
	v_fma_f64 v[92:93], v[10:11], v[90:91], v[4:5]
	ds_read_b128 v[4:7], v52 offset:53760
	ds_read_b128 v[8:11], v52 offset:55680
	s_waitcnt vmcnt(0) lgkmcnt(1)
	v_mul_f64 v[28:29], v[6:7], v[134:135]
	v_fma_f64 v[161:162], v[4:5], v[132:133], -v[28:29]
	buffer_store_dword v132, off, s[36:39], 0 offset:1232 ; 4-byte Folded Spill
	buffer_store_dword v133, off, s[36:39], 0 offset:1236 ; 4-byte Folded Spill
	;; [unrolled: 1-line block ×4, first 2 shown]
	v_mul_f64 v[4:5], v[4:5], v[134:135]
	v_fma_f64 v[163:164], v[6:7], v[132:133], v[4:5]
	v_add_nc_u16 v4, v130, 0x1e0
	v_lshrrev_b16 v5, 2, v4
	v_mul_u32_u24_sdwa v5, v5, v53 dst_sel:DWORD dst_unused:UNUSED_PAD src0_sel:WORD_0 src1_sel:DWORD
	v_lshrrev_b32_e32 v109, 17, v5
	v_mul_lo_u16 v5, 0x64, v109
	v_sub_nc_u16 v110, v4, v5
	v_mul_lo_u16 v4, 0x50, v110
	v_and_b32_e32 v4, 0xffff, v4
	v_add_co_u32 v4, s24, s10, v4
	v_add_co_ci_u32_e64 v5, null, s11, 0, s24
	s_clause 0x1
	global_load_dwordx4 v[132:135], v[4:5], off offset:1440
	global_load_dwordx4 v[136:139], v[4:5], off offset:1456
	s_waitcnt vmcnt(1)
	buffer_store_dword v132, off, s[36:39], 0 offset:1252 ; 4-byte Folded Spill
	buffer_store_dword v133, off, s[36:39], 0 offset:1256 ; 4-byte Folded Spill
	buffer_store_dword v134, off, s[36:39], 0 offset:1260 ; 4-byte Folded Spill
	buffer_store_dword v135, off, s[36:39], 0 offset:1264 ; 4-byte Folded Spill
	s_waitcnt vmcnt(0)
	buffer_store_dword v136, off, s[36:39], 0 offset:1268 ; 4-byte Folded Spill
	buffer_store_dword v137, off, s[36:39], 0 offset:1272 ; 4-byte Folded Spill
	;; [unrolled: 1-line block ×4, first 2 shown]
	s_mov_b32 s24, 0xe8584caa
	s_mov_b32 s25, 0x3febb67a
	s_mov_b32 s26, s24
	v_mul_f64 v[6:7], v[40:41], v[134:135]
	v_fma_f64 v[28:29], v[38:39], v[132:133], -v[6:7]
	v_mul_f64 v[6:7], v[38:39], v[134:135]
	v_fma_f64 v[40:41], v[40:41], v[132:133], v[6:7]
	v_mul_f64 v[6:7], v[113:114], v[138:139]
	v_fma_f64 v[38:39], v[111:112], v[136:137], -v[6:7]
	v_mul_f64 v[6:7], v[111:112], v[138:139]
	v_fma_f64 v[46:47], v[113:114], v[136:137], v[6:7]
	global_load_dwordx4 v[111:114], v[4:5], off offset:1472
	s_waitcnt vmcnt(0)
	buffer_store_dword v111, off, s[36:39], 0 offset:1284 ; 4-byte Folded Spill
	buffer_store_dword v112, off, s[36:39], 0 offset:1288 ; 4-byte Folded Spill
	;; [unrolled: 1-line block ×4, first 2 shown]
	global_load_dwordx4 v[132:135], v[4:5], off offset:1488
	s_waitcnt vmcnt(0)
	buffer_store_dword v132, off, s[36:39], 0 offset:1300 ; 4-byte Folded Spill
	buffer_store_dword v133, off, s[36:39], 0 offset:1304 ; 4-byte Folded Spill
	;; [unrolled: 1-line block ×4, first 2 shown]
	v_mul_f64 v[6:7], v[121:122], v[113:114]
	v_fma_f64 v[70:71], v[119:120], v[111:112], -v[6:7]
	v_mul_f64 v[6:7], v[119:120], v[113:114]
	v_fma_f64 v[64:65], v[121:122], v[111:112], v[6:7]
	global_load_dwordx4 v[111:114], v[4:5], off offset:1504
	s_waitcnt vmcnt(0)
	buffer_store_dword v111, off, s[36:39], 0 offset:1320 ; 4-byte Folded Spill
	buffer_store_dword v112, off, s[36:39], 0 offset:1324 ; 4-byte Folded Spill
	;; [unrolled: 1-line block ×4, first 2 shown]
	v_mul_f64 v[6:7], v[117:118], v[134:135]
	v_fma_f64 v[76:77], v[115:116], v[132:133], -v[6:7]
	v_mul_f64 v[6:7], v[115:116], v[134:135]
	v_fma_f64 v[84:85], v[117:118], v[132:133], v[6:7]
	s_waitcnt lgkmcnt(0)
	v_mul_f64 v[4:5], v[10:11], v[113:114]
	v_fma_f64 v[94:95], v[8:9], v[111:112], -v[4:5]
	v_mul_f64 v[4:5], v[8:9], v[113:114]
	v_add_f64 v[8:9], v[24:25], v[72:73]
	v_fma_f64 v[90:91], v[10:11], v[111:112], v[4:5]
	ds_read_b128 v[4:7], v52
	ds_read_b128 v[111:114], v52 offset:1920
	ds_read_b128 v[136:139], v52 offset:3840
	;; [unrolled: 1-line block ×3, first 2 shown]
	s_waitcnt lgkmcnt(0)
	s_waitcnt_vscnt null, 0x0
	s_barrier
	buffer_gl0_inv
	v_fma_f64 v[119:120], v[8:9], -0.5, v[4:5]
	v_add_f64 v[8:9], v[32:33], v[78:79]
	v_add_f64 v[4:5], v[4:5], v[24:25]
	v_fma_f64 v[121:122], v[8:9], -0.5, v[6:7]
	v_add_f64 v[8:9], v[4:5], v[72:73]
	v_add_f64 v[4:5], v[14:15], v[62:63]
	v_add_f64 v[72:73], v[24:25], -v[72:73]
	v_add_f64 v[6:7], v[6:7], v[32:33]
	v_add_f64 v[32:33], v[32:33], -v[78:79]
	v_add_f64 v[115:116], v[4:5], v[123:124]
	v_add_f64 v[4:5], v[22:23], v[54:55]
	;; [unrolled: 1-line block ×5, first 2 shown]
	v_add_f64 v[8:9], v[8:9], -v[115:116]
	v_add_f64 v[115:116], v[54:55], v[125:126]
	v_add_f64 v[53:54], v[54:55], -v[125:126]
	v_add_f64 v[6:7], v[10:11], v[117:118]
	v_add_f64 v[10:11], v[10:11], -v[117:118]
	v_fma_f64 v[132:133], v[115:116], -0.5, v[22:23]
	v_add_f64 v[22:23], v[62:63], v[123:124]
	v_add_f64 v[62:63], v[62:63], -v[123:124]
	v_fma_f64 v[123:124], v[72:73], s[26:27], v[121:122]
	v_fma_f64 v[115:116], v[32:33], s[24:25], v[119:120]
	;; [unrolled: 1-line block ×3, first 2 shown]
	v_fma_f64 v[14:15], v[22:23], -0.5, v[14:15]
	v_fma_f64 v[22:23], v[62:63], s[26:27], v[132:133]
	v_fma_f64 v[62:63], v[62:63], s[24:25], v[132:133]
	;; [unrolled: 1-line block ×5, first 2 shown]
	v_mul_f64 v[78:79], v[22:23], s[24:25]
	v_mul_f64 v[72:73], v[14:15], -0.5
	v_fma_f64 v[78:79], v[24:25], 0.5, v[78:79]
	v_mul_f64 v[24:25], v[24:25], s[26:27]
	v_fma_f64 v[72:73], v[62:63], s[24:25], v[72:73]
	v_mul_f64 v[62:63], v[62:63], -0.5
	v_fma_f64 v[117:118], v[22:23], 0.5, v[24:25]
	v_add_f64 v[22:23], v[115:116], v[78:79]
	v_add_f64 v[115:116], v[115:116], -v[78:79]
	v_add_f64 v[78:79], v[30:31], v[100:101]
	v_add_f64 v[119:120], v[32:33], v[72:73]
	v_fma_f64 v[14:15], v[14:15], s[26:27], v[62:63]
	v_add_f64 v[24:25], v[123:124], v[117:118]
	v_add_f64 v[117:118], v[123:124], -v[117:118]
	v_add_f64 v[123:124], v[32:33], -v[72:73]
	v_add_f64 v[72:73], v[16:17], v[56:57]
	v_add_f64 v[32:33], v[113:114], v[44:45]
	;; [unrolled: 1-line block ×4, first 2 shown]
	v_add_f64 v[125:126], v[53:54], -v[14:15]
	v_add_f64 v[14:15], v[36:37], v[82:83]
	v_add_f64 v[72:73], v[72:73], v[98:99]
	;; [unrolled: 1-line block ×3, first 2 shown]
	v_fma_f64 v[53:54], v[14:15], -0.5, v[111:112]
	v_add_f64 v[14:15], v[44:45], v[86:87]
	v_add_f64 v[44:45], v[44:45], -v[86:87]
	v_add_f64 v[134:135], v[32:33], -v[78:79]
	v_fma_f64 v[62:63], v[14:15], -0.5, v[113:114]
	v_add_f64 v[14:15], v[111:112], v[36:37]
	v_add_f64 v[113:114], v[32:33], v[78:79]
	v_add_f64 v[36:37], v[36:37], -v[82:83]
	v_fma_f64 v[86:87], v[44:45], s[24:25], v[53:54]
	v_fma_f64 v[44:45], v[44:45], s[26:27], v[53:54]
	v_add_f64 v[14:15], v[14:15], v[82:83]
	v_add_f64 v[82:83], v[100:101], -v[96:97]
	v_add_f64 v[111:112], v[14:15], v[72:73]
	v_add_f64 v[132:133], v[14:15], -v[72:73]
	v_add_f64 v[14:15], v[100:101], v[96:97]
	v_fma_f64 v[96:97], v[36:37], s[26:27], v[62:63]
	v_fma_f64 v[36:37], v[36:37], s[24:25], v[62:63]
	v_fma_f64 v[72:73], v[14:15], -0.5, v[30:31]
	v_add_f64 v[14:15], v[56:57], v[98:99]
	v_add_f64 v[55:56], v[56:57], -v[98:99]
	v_fma_f64 v[78:79], v[14:15], -0.5, v[16:17]
	v_fma_f64 v[14:15], v[55:56], s[26:27], v[72:73]
	v_fma_f64 v[53:54], v[55:56], s[24:25], v[72:73]
	;; [unrolled: 1-line block ×3, first 2 shown]
	v_mul_f64 v[30:31], v[14:15], s[24:25]
	v_fma_f64 v[78:79], v[82:83], s[26:27], v[78:79]
	v_add_f64 v[82:83], v[18:19], v[42:43]
	v_fma_f64 v[30:31], v[16:17], 0.5, v[30:31]
	v_mul_f64 v[16:17], v[16:17], s[26:27]
	v_mul_f64 v[55:56], v[78:79], -0.5
	v_add_f64 v[82:83], v[82:83], v[148:149]
	v_fma_f64 v[32:33], v[14:15], 0.5, v[16:17]
	v_fma_f64 v[62:63], v[53:54], s[24:25], v[55:56]
	v_mul_f64 v[53:54], v[53:54], -0.5
	v_add_f64 v[14:15], v[86:87], v[30:31]
	v_add_f64 v[30:31], v[86:87], -v[30:31]
	v_add_f64 v[16:17], v[96:97], v[32:33]
	v_add_f64 v[32:33], v[96:97], -v[32:33]
	v_fma_f64 v[72:73], v[78:79], s[26:27], v[53:54]
	v_add_f64 v[54:55], v[44:45], v[62:63]
	v_add_f64 v[96:97], v[44:45], -v[62:63]
	v_add_f64 v[44:45], v[26:27], v[66:67]
	v_add_f64 v[78:79], v[12:13], v[48:49]
	;; [unrolled: 1-line block ×3, first 2 shown]
	v_add_f64 v[98:99], v[36:37], -v[72:73]
	v_add_f64 v[36:37], v[20:21], v[58:59]
	v_fma_f64 v[62:63], v[44:45], -0.5, v[138:139]
	v_add_f64 v[44:45], v[136:137], v[20:21]
	v_add_f64 v[72:73], v[138:139], v[26:27]
	;; [unrolled: 1-line block ×3, first 2 shown]
	v_add_f64 v[26:27], v[26:27], -v[66:67]
	v_fma_f64 v[36:37], v[36:37], -0.5, v[136:137]
	v_add_f64 v[44:45], v[44:45], v[58:59]
	v_add_f64 v[72:73], v[72:73], v[66:67]
	v_add_f64 v[66:67], v[42:43], -v[148:149]
	v_add_f64 v[58:59], v[20:21], -v[58:59]
	v_add_f64 v[136:137], v[44:45], v[78:79]
	v_add_f64 v[144:145], v[44:45], -v[78:79]
	v_add_f64 v[44:45], v[42:43], v[148:149]
	v_add_f64 v[138:139], v[72:73], v[82:83]
	v_add_f64 v[146:147], v[72:73], -v[82:83]
	v_fma_f64 v[78:79], v[26:27], s[24:25], v[36:37]
	v_fma_f64 v[82:83], v[58:59], s[26:27], v[62:63]
	;; [unrolled: 1-line block ×4, first 2 shown]
	v_add_f64 v[62:63], v[50:51], v[74:75]
	v_fma_f64 v[72:73], v[44:45], -0.5, v[18:19]
	v_add_f64 v[18:19], v[48:49], v[127:128]
	v_add_f64 v[48:49], v[48:49], -v[127:128]
	v_add_f64 v[62:63], v[62:63], v[163:164]
	v_fma_f64 v[12:13], v[18:19], -0.5, v[12:13]
	v_fma_f64 v[18:19], v[48:49], s[26:27], v[72:73]
	v_fma_f64 v[48:49], v[48:49], s[24:25], v[72:73]
	v_add_f64 v[72:73], v[74:75], -v[163:164]
	v_fma_f64 v[20:21], v[66:67], s[24:25], v[12:13]
	v_fma_f64 v[12:13], v[66:67], s[26:27], v[12:13]
	v_mul_f64 v[42:43], v[18:19], s[24:25]
	v_add_f64 v[66:67], v[68:69], -v[92:93]
	v_mul_f64 v[58:59], v[12:13], -0.5
	v_fma_f64 v[42:43], v[20:21], 0.5, v[42:43]
	v_mul_f64 v[20:21], v[20:21], s[26:27]
	v_fma_f64 v[58:59], v[48:49], s[24:25], v[58:59]
	v_mul_f64 v[48:49], v[48:49], -0.5
	v_fma_f64 v[44:45], v[18:19], 0.5, v[20:21]
	v_add_f64 v[18:19], v[78:79], v[42:43]
	v_add_f64 v[42:43], v[78:79], -v[42:43]
	v_add_f64 v[148:149], v[26:27], v[58:59]
	v_fma_f64 v[12:13], v[12:13], s[26:27], v[48:49]
	v_add_f64 v[152:153], v[26:27], -v[58:59]
	v_add_f64 v[58:59], v[34:35], v[80:81]
	v_add_f64 v[48:49], v[142:143], v[68:69]
	v_add_f64 v[26:27], v[68:69], v[92:93]
	v_add_f64 v[20:21], v[82:83], v[44:45]
	v_add_f64 v[44:45], v[82:83], -v[44:45]
	v_add_f64 v[150:151], v[36:37], v[12:13]
	v_add_f64 v[154:155], v[36:37], -v[12:13]
	v_add_f64 v[36:37], v[140:141], v[60:61]
	v_add_f64 v[12:13], v[60:61], v[88:89]
	;; [unrolled: 1-line block ×4, first 2 shown]
	v_fma_f64 v[26:27], v[26:27], -0.5, v[142:143]
	v_add_f64 v[60:61], v[60:61], -v[88:89]
	v_add_f64 v[36:37], v[36:37], v[88:89]
	v_fma_f64 v[12:13], v[12:13], -0.5, v[140:141]
	v_add_f64 v[142:143], v[48:49], v[62:63]
	v_add_f64 v[158:159], v[48:49], -v[62:63]
	v_add_f64 v[62:63], v[80:81], -v[161:162]
	v_fma_f64 v[78:79], v[60:61], s[26:27], v[26:27]
	v_fma_f64 v[26:27], v[60:61], s[24:25], v[26:27]
	v_add_f64 v[140:141], v[36:37], v[58:59]
	v_add_f64 v[156:157], v[36:37], -v[58:59]
	v_add_f64 v[36:37], v[74:75], v[163:164]
	v_fma_f64 v[74:75], v[66:67], s[24:25], v[12:13]
	v_fma_f64 v[12:13], v[66:67], s[26:27], v[12:13]
	v_fma_f64 v[58:59], v[36:37], -0.5, v[50:51]
	v_add_f64 v[36:37], v[80:81], v[161:162]
	v_fma_f64 v[68:69], v[36:37], -0.5, v[34:35]
	v_fma_f64 v[34:35], v[62:63], s[26:27], v[58:59]
	v_fma_f64 v[58:59], v[62:63], s[24:25], v[58:59]
	;; [unrolled: 1-line block ×4, first 2 shown]
	v_mul_f64 v[48:49], v[34:35], s[24:25]
	v_mul_f64 v[60:61], v[68:69], -0.5
	v_fma_f64 v[48:49], v[36:37], 0.5, v[48:49]
	v_mul_f64 v[36:37], v[36:37], s[26:27]
	v_fma_f64 v[62:63], v[58:59], s[24:25], v[60:61]
	v_mul_f64 v[58:59], v[58:59], -0.5
	v_fma_f64 v[50:51], v[34:35], 0.5, v[36:37]
	v_add_f64 v[34:35], v[74:75], v[48:49]
	v_add_f64 v[48:49], v[74:75], -v[48:49]
	v_add_f64 v[66:67], v[12:13], -v[62:63]
	v_fma_f64 v[68:69], v[68:69], s[26:27], v[58:59]
	v_add_f64 v[58:59], v[12:13], v[62:63]
	v_add_f64 v[12:13], v[38:39], v[76:77]
	v_add_f64 v[36:37], v[78:79], v[50:51]
	v_add_f64 v[50:51], v[78:79], -v[50:51]
	v_add_f64 v[60:61], v[26:27], v[68:69]
	v_add_f64 v[68:69], v[26:27], -v[68:69]
	v_fma_f64 v[12:13], v[12:13], -0.5, v[0:1]
	v_add_f64 v[26:27], v[46:47], v[84:85]
	v_add_f64 v[0:1], v[0:1], v[38:39]
	v_fma_f64 v[62:63], v[26:27], -0.5, v[2:3]
	v_add_f64 v[26:27], v[0:1], v[76:77]
	v_add_f64 v[0:1], v[28:29], v[70:71]
	;; [unrolled: 1-line block ×3, first 2 shown]
	v_add_f64 v[46:47], v[46:47], -v[84:85]
	v_add_f64 v[76:77], v[38:39], -v[76:77]
	v_add_f64 v[72:73], v[0:1], v[94:95]
	v_add_f64 v[0:1], v[40:41], v[64:65]
	;; [unrolled: 1-line block ×3, first 2 shown]
	v_fma_f64 v[82:83], v[46:47], s[24:25], v[12:13]
	v_fma_f64 v[84:85], v[76:77], s[26:27], v[62:63]
	;; [unrolled: 1-line block ×4, first 2 shown]
	v_add_f64 v[78:79], v[0:1], v[90:91]
	v_add_f64 v[0:1], v[26:27], v[72:73]
	v_add_f64 v[72:73], v[26:27], -v[72:73]
	v_add_f64 v[26:27], v[64:65], v[90:91]
	v_add_f64 v[64:65], v[64:65], -v[90:91]
	;; [unrolled: 2-line block ×3, first 2 shown]
	v_fma_f64 v[78:79], v[26:27], -0.5, v[40:41]
	v_add_f64 v[26:27], v[70:71], v[94:95]
	v_add_f64 v[70:71], v[70:71], -v[94:95]
	v_fma_f64 v[80:81], v[26:27], -0.5, v[28:29]
	v_fma_f64 v[26:27], v[70:71], s[26:27], v[78:79]
	v_fma_f64 v[62:63], v[70:71], s[24:25], v[78:79]
	;; [unrolled: 1-line block ×4, first 2 shown]
	v_mul_f64 v[38:39], v[26:27], s[24:25]
	v_mul_f64 v[70:71], v[64:65], -0.5
	v_fma_f64 v[38:39], v[28:29], 0.5, v[38:39]
	v_mul_f64 v[28:29], v[28:29], s[26:27]
	v_fma_f64 v[70:71], v[62:63], s[24:25], v[70:71]
	v_mul_f64 v[62:63], v[62:63], -0.5
	v_fma_f64 v[40:41], v[26:27], 0.5, v[28:29]
	v_add_f64 v[26:27], v[82:83], v[38:39]
	v_add_f64 v[38:39], v[82:83], -v[38:39]
	v_add_f64 v[76:77], v[12:13], -v[70:71]
	v_fma_f64 v[78:79], v[64:65], s[26:27], v[62:63]
	v_add_f64 v[62:63], v[12:13], v[70:71]
	v_cndmask_b32_e64 v12, 0, 0x258, vcc_lo
	v_add_f64 v[28:29], v[84:85], v[40:41]
	v_add_f64 v[40:41], v[84:85], -v[40:41]
	v_add_lshl_u32 v255, v102, v12, 4
	ds_write_b128 v255, v[4:7]
	ds_write_b128 v255, v[22:25] offset:1600
	ds_write_b128 v255, v[119:122] offset:3200
	;; [unrolled: 1-line block ×5, first 2 shown]
	v_mov_b32_e32 v4, 0x258
	v_mul_u32_u24_sdwa v4, v103, v4 dst_sel:DWORD dst_unused:UNUSED_PAD src0_sel:WORD_0 src1_sel:DWORD
	v_add_f64 v[64:65], v[46:47], v[78:79]
	v_add_lshl_u32 v4, v4, v104, 4
	v_add_f64 v[78:79], v[46:47], -v[78:79]
	buffer_store_dword v4, off, s[36:39], 0 offset:1440 ; 4-byte Folded Spill
	ds_write_b128 v4, v[111:114]
	ds_write_b128 v4, v[14:17] offset:1600
	ds_write_b128 v4, v[54:57] offset:3200
	;; [unrolled: 1-line block ×5, first 2 shown]
	v_mad_u16 v4, 0x258, v105, v106
	v_lshlrev_b32_sdwa v4, v131, v4 dst_sel:DWORD dst_unused:UNUSED_PAD src0_sel:DWORD src1_sel:WORD_0
	buffer_store_dword v4, off, s[36:39], 0 offset:1420 ; 4-byte Folded Spill
	ds_write_b128 v4, v[136:139]
	ds_write_b128 v4, v[18:21] offset:1600
	ds_write_b128 v4, v[148:151] offset:3200
	;; [unrolled: 1-line block ×5, first 2 shown]
	v_mad_u16 v4, 0x258, v107, v108
	v_lshlrev_b32_sdwa v4, v131, v4 dst_sel:DWORD dst_unused:UNUSED_PAD src0_sel:DWORD src1_sel:WORD_0
	buffer_store_dword v4, off, s[36:39], 0 offset:1384 ; 4-byte Folded Spill
	ds_write_b128 v4, v[140:143]
	ds_write_b128 v4, v[34:37] offset:1600
	ds_write_b128 v4, v[58:61] offset:3200
	;; [unrolled: 1-line block ×5, first 2 shown]
	v_mad_u16 v4, 0x258, v109, v110
	v_mad_u64_u32 v[48:49], null, 0x50, v129, s[10:11]
	v_lshlrev_b32_sdwa v4, v131, v4 dst_sel:DWORD dst_unused:UNUSED_PAD src0_sel:DWORD src1_sel:WORD_0
	buffer_store_dword v4, off, s[36:39], 0 offset:1316 ; 4-byte Folded Spill
	ds_write_b128 v4, v[0:3]
	ds_write_b128 v4, v[26:29] offset:1600
	ds_write_b128 v4, v[62:65] offset:3200
	;; [unrolled: 1-line block ×5, first 2 shown]
	v_add_co_u32 v0, vcc_lo, 0x2000, v48
	v_add_co_ci_u32_e32 v1, vcc_lo, 0, v49, vcc_lo
	s_waitcnt lgkmcnt(0)
	s_waitcnt_vscnt null, 0x0
	s_barrier
	buffer_gl0_inv
	global_load_dwordx4 v[8:11], v[0:1], off offset:1248
	v_add_co_u32 v2, vcc_lo, 0x24e0, v48
	v_add_co_ci_u32_e32 v3, vcc_lo, 0, v49, vcc_lo
	ds_read_b128 v[4:7], v52 offset:9600
	ds_read_b128 v[20:23], v52 offset:7680
	global_load_dwordx4 v[16:19], v[2:3], off offset:48
	s_waitcnt vmcnt(1)
	v_mov_b32_e32 v13, v11
	v_mov_b32_e32 v12, v10
	;; [unrolled: 1-line block ×4, first 2 shown]
	buffer_store_dword v10, off, s[36:39], 0 offset:1368 ; 4-byte Folded Spill
	buffer_store_dword v11, off, s[36:39], 0 offset:1372 ; 4-byte Folded Spill
	;; [unrolled: 1-line block ×4, first 2 shown]
	s_waitcnt lgkmcnt(1)
	v_mul_f64 v[8:9], v[6:7], v[12:13]
	v_fma_f64 v[28:29], v[4:5], v[10:11], -v[8:9]
	v_mul_f64 v[4:5], v[4:5], v[12:13]
	v_fma_f64 v[128:129], v[6:7], v[10:11], v[4:5]
	global_load_dwordx4 v[8:11], v[2:3], off offset:16
	s_waitcnt vmcnt(0)
	buffer_store_dword v8, off, s[36:39], 0 offset:1388 ; 4-byte Folded Spill
	buffer_store_dword v9, off, s[36:39], 0 offset:1392 ; 4-byte Folded Spill
	;; [unrolled: 1-line block ×4, first 2 shown]
	global_load_dwordx4 v[24:27], v[2:3], off offset:32
	ds_read_b128 v[4:7], v52 offset:19200
	ds_read_b128 v[12:15], v52 offset:21120
	s_waitcnt lgkmcnt(1)
	v_mul_f64 v[2:3], v[6:7], v[10:11]
	v_fma_f64 v[82:83], v[4:5], v[8:9], -v[2:3]
	v_mul_f64 v[2:3], v[4:5], v[10:11]
	v_fma_f64 v[80:81], v[6:7], v[8:9], v[2:3]
	s_waitcnt vmcnt(0)
	v_mov_b32_e32 v8, v24
	v_mov_b32_e32 v9, v25
	;; [unrolled: 1-line block ×4, first 2 shown]
	ds_read_b128 v[4:7], v52 offset:28800
	ds_read_b128 v[130:133], v52 offset:26880
	buffer_store_dword v8, off, s[36:39], 0 offset:1352 ; 4-byte Folded Spill
	buffer_store_dword v9, off, s[36:39], 0 offset:1356 ; 4-byte Folded Spill
	;; [unrolled: 1-line block ×4, first 2 shown]
	s_waitcnt lgkmcnt(1)
	v_mul_f64 v[2:3], v[6:7], v[10:11]
	v_fma_f64 v[26:27], v[4:5], v[8:9], -v[2:3]
	v_mul_f64 v[2:3], v[4:5], v[10:11]
	v_fma_f64 v[24:25], v[6:7], v[8:9], v[2:3]
	ds_read_b128 v[4:7], v52 offset:38400
	ds_read_b128 v[30:33], v52 offset:40320
	buffer_store_dword v16, off, s[36:39], 0 offset:1336 ; 4-byte Folded Spill
	buffer_store_dword v17, off, s[36:39], 0 offset:1340 ; 4-byte Folded Spill
	;; [unrolled: 1-line block ×4, first 2 shown]
	global_load_dwordx4 v[36:39], v[0:1], off offset:1312
	s_waitcnt vmcnt(0)
	buffer_store_dword v36, off, s[36:39], 0 offset:1404 ; 4-byte Folded Spill
	buffer_store_dword v37, off, s[36:39], 0 offset:1408 ; 4-byte Folded Spill
	;; [unrolled: 1-line block ×4, first 2 shown]
	s_waitcnt lgkmcnt(1)
	v_mul_f64 v[2:3], v[6:7], v[18:19]
	v_fma_f64 v[40:41], v[4:5], v[16:17], -v[2:3]
	v_mul_f64 v[2:3], v[4:5], v[18:19]
	v_fma_f64 v[34:35], v[6:7], v[16:17], v[2:3]
	v_add_co_u32 v2, vcc_lo, 0x4a60, v48
	v_add_co_ci_u32_e32 v3, vcc_lo, 0, v49, vcc_lo
	ds_read_b128 v[4:7], v52 offset:48000
	ds_read_b128 v[16:19], v52 offset:46080
	global_load_dwordx4 v[8:11], v[2:3], off offset:16
	s_waitcnt lgkmcnt(1)
	v_mul_f64 v[0:1], v[6:7], v[38:39]
	v_fma_f64 v[50:51], v[4:5], v[36:37], -v[0:1]
	v_mul_f64 v[0:1], v[4:5], v[38:39]
	v_fma_f64 v[106:107], v[6:7], v[36:37], v[0:1]
	v_add_co_u32 v0, vcc_lo, 0x4800, v48
	v_add_co_ci_u32_e32 v1, vcc_lo, 0, v49, vcc_lo
	s_clause 0x1
	global_load_dwordx4 v[244:247], v[0:1], off offset:608
	global_load_dwordx4 v[248:251], v[0:1], off offset:672
	ds_read_b128 v[4:7], v52 offset:11520
	ds_read_b128 v[36:39], v52 offset:13440
	s_waitcnt vmcnt(2)
	buffer_store_dword v8, off, s[36:39], 0 offset:1424 ; 4-byte Folded Spill
	buffer_store_dword v9, off, s[36:39], 0 offset:1428 ; 4-byte Folded Spill
	;; [unrolled: 1-line block ×4, first 2 shown]
	s_clause 0x1
	global_load_dwordx4 v[240:243], v[2:3], off offset:32
	global_load_dwordx4 v[236:239], v[2:3], off offset:48
	s_waitcnt vmcnt(3) lgkmcnt(1)
	v_mul_f64 v[0:1], v[6:7], v[246:247]
	v_fma_f64 v[94:95], v[4:5], v[244:245], -v[0:1]
	v_mul_f64 v[0:1], v[4:5], v[246:247]
	v_fma_f64 v[92:93], v[6:7], v[244:245], v[0:1]
	v_mul_f64 v[0:1], v[14:15], v[10:11]
	ds_read_b128 v[4:7], v52 offset:30720
	ds_read_b128 v[54:57], v52 offset:32640
	v_fma_f64 v[126:127], v[12:13], v[8:9], -v[0:1]
	v_mul_f64 v[0:1], v[12:13], v[10:11]
	v_fma_f64 v[42:43], v[14:15], v[8:9], v[0:1]
	s_waitcnt vmcnt(1) lgkmcnt(1)
	v_mul_f64 v[0:1], v[6:7], v[242:243]
	v_fma_f64 v[70:71], v[4:5], v[240:241], -v[0:1]
	v_mul_f64 v[0:1], v[4:5], v[242:243]
	v_fma_f64 v[68:69], v[6:7], v[240:241], v[0:1]
	s_waitcnt vmcnt(0)
	v_mul_f64 v[0:1], v[32:33], v[238:239]
	ds_read_b128 v[4:7], v52 offset:49920
	ds_read_b128 v[60:63], v52 offset:51840
	v_fma_f64 v[74:75], v[30:31], v[236:237], -v[0:1]
	v_mul_f64 v[0:1], v[30:31], v[238:239]
	v_fma_f64 v[78:79], v[32:33], v[236:237], v[0:1]
	s_waitcnt lgkmcnt(1)
	v_mul_f64 v[0:1], v[6:7], v[250:251]
	v_fma_f64 v[122:123], v[4:5], v[248:249], -v[0:1]
	v_mul_f64 v[0:1], v[4:5], v[250:251]
	v_fma_f64 v[124:125], v[6:7], v[248:249], v[0:1]
	v_add_co_u32 v0, vcc_lo, 0x6800, v48
	v_add_co_ci_u32_e32 v1, vcc_lo, 0, v49, vcc_lo
	v_add_co_u32 v2, vcc_lo, 0x6fe0, v48
	v_add_co_ci_u32_e32 v3, vcc_lo, 0, v49, vcc_lo
	s_clause 0x3
	global_load_dwordx4 v[228:231], v[0:1], off offset:2016
	global_load_dwordx4 v[232:235], v[2:3], off offset:48
	;; [unrolled: 1-line block ×4, first 2 shown]
	ds_read_b128 v[4:7], v52 offset:23040
	ds_read_b128 v[84:87], v52 offset:24960
	s_waitcnt vmcnt(3)
	v_mul_f64 v[0:1], v[38:39], v[230:231]
	v_fma_f64 v[116:117], v[36:37], v[228:229], -v[0:1]
	v_mul_f64 v[0:1], v[36:37], v[230:231]
	v_fma_f64 v[118:119], v[38:39], v[228:229], v[0:1]
	s_waitcnt vmcnt(1) lgkmcnt(1)
	v_mul_f64 v[0:1], v[6:7], v[222:223]
	v_fma_f64 v[198:199], v[4:5], v[220:221], -v[0:1]
	v_mul_f64 v[0:1], v[4:5], v[222:223]
	v_fma_f64 v[104:105], v[6:7], v[220:221], v[0:1]
	s_waitcnt vmcnt(0)
	v_mul_f64 v[0:1], v[56:57], v[218:219]
	ds_read_b128 v[4:7], v52 offset:42240
	ds_read_b128 v[88:91], v52 offset:44160
	v_fma_f64 v[98:99], v[54:55], v[216:217], -v[0:1]
	v_mul_f64 v[0:1], v[54:55], v[218:219]
	v_fma_f64 v[100:101], v[56:57], v[216:217], v[0:1]
	s_waitcnt lgkmcnt(1)
	v_mul_f64 v[0:1], v[6:7], v[234:235]
	v_fma_f64 v[196:197], v[4:5], v[232:233], -v[0:1]
	v_mul_f64 v[0:1], v[4:5], v[234:235]
	v_fma_f64 v[46:47], v[6:7], v[232:233], v[0:1]
	v_add_co_u32 v0, vcc_lo, 0x7000, v48
	v_add_co_ci_u32_e32 v1, vcc_lo, 0, v49, vcc_lo
	v_add_co_u32 v2, vcc_lo, 0x9560, v48
	v_add_co_ci_u32_e32 v3, vcc_lo, 0, v49, vcc_lo
	s_clause 0x1
	global_load_dwordx4 v[208:211], v[0:1], off offset:32
	global_load_dwordx4 v[212:215], v[2:3], off offset:16
	s_waitcnt vmcnt(1)
	v_mul_f64 v[0:1], v[62:63], v[210:211]
	v_fma_f64 v[44:45], v[60:61], v[208:209], -v[0:1]
	v_mul_f64 v[0:1], v[60:61], v[210:211]
	v_fma_f64 v[110:111], v[62:63], v[208:209], v[0:1]
	v_add_co_u32 v0, vcc_lo, 0x9000, v48
	v_add_co_ci_u32_e32 v1, vcc_lo, 0, v49, vcc_lo
	s_clause 0x1
	global_load_dwordx4 v[200:203], v[0:1], off offset:1376
	global_load_dwordx4 v[204:207], v[0:1], off offset:1440
	ds_read_b128 v[4:7], v52 offset:15360
	ds_read_b128 v[8:11], v52 offset:17280
	s_clause 0x1
	global_load_dwordx4 v[178:181], v[2:3], off offset:32
	global_load_dwordx4 v[174:177], v[2:3], off offset:48
	s_waitcnt vmcnt(3) lgkmcnt(1)
	v_mul_f64 v[0:1], v[6:7], v[202:203]
	v_fma_f64 v[190:191], v[4:5], v[200:201], -v[0:1]
	v_mul_f64 v[0:1], v[4:5], v[202:203]
	v_fma_f64 v[108:109], v[6:7], v[200:201], v[0:1]
	v_mul_f64 v[0:1], v[86:87], v[214:215]
	v_fma_f64 v[96:97], v[84:85], v[212:213], -v[0:1]
	v_mul_f64 v[0:1], v[84:85], v[214:215]
	v_fma_f64 v[84:85], v[86:87], v[212:213], v[0:1]
	ds_read_b128 v[4:7], v52 offset:34560
	ds_read_b128 v[0:3], v52 offset:36480
	s_waitcnt vmcnt(1) lgkmcnt(1)
	v_mul_f64 v[12:13], v[6:7], v[180:181]
	v_fma_f64 v[194:195], v[4:5], v[178:179], -v[12:13]
	v_mul_f64 v[4:5], v[4:5], v[180:181]
	v_fma_f64 v[192:193], v[6:7], v[178:179], v[4:5]
	s_waitcnt vmcnt(0)
	v_mul_f64 v[4:5], v[90:91], v[176:177]
	v_fma_f64 v[112:113], v[88:89], v[174:175], -v[4:5]
	v_mul_f64 v[4:5], v[88:89], v[176:177]
	v_fma_f64 v[88:89], v[90:91], v[174:175], v[4:5]
	ds_read_b128 v[4:7], v52 offset:53760
	ds_read_b128 v[12:15], v52 offset:55680
	s_waitcnt lgkmcnt(1)
	v_mul_f64 v[30:31], v[6:7], v[206:207]
	v_fma_f64 v[90:91], v[4:5], v[204:205], -v[30:31]
	v_mul_f64 v[4:5], v[4:5], v[206:207]
	v_fma_f64 v[4:5], v[6:7], v[204:205], v[4:5]
	v_add_co_u32 v6, vcc_lo, 0xb800, v48
	v_add_co_ci_u32_e32 v7, vcc_lo, 0, v49, vcc_lo
	v_add_co_u32 v30, vcc_lo, 0xbae0, v48
	v_add_co_ci_u32_e32 v31, vcc_lo, 0, v49, vcc_lo
	s_clause 0x4
	global_load_dwordx4 v[170:173], v[6:7], off offset:736
	global_load_dwordx4 v[182:185], v[30:31], off offset:48
	;; [unrolled: 1-line block ×5, first 2 shown]
	v_add_f64 v[6:7], v[82:83], v[40:41]
	s_waitcnt vmcnt(4)
	v_mul_f64 v[32:33], v[10:11], v[172:173]
	v_fma_f64 v[158:159], v[8:9], v[170:171], -v[32:33]
	v_mul_f64 v[8:9], v[8:9], v[172:173]
	v_fma_f64 v[134:135], v[10:11], v[170:171], v[8:9]
	s_waitcnt vmcnt(2)
	v_mul_f64 v[8:9], v[132:133], v[164:165]
	v_fma_f64 v[102:103], v[130:131], v[162:163], -v[8:9]
	v_mul_f64 v[8:9], v[130:131], v[164:165]
	v_fma_f64 v[86:87], v[132:133], v[162:163], v[8:9]
	;; [unrolled: 5-line block ×3, first 2 shown]
	v_mul_f64 v[0:1], v[18:19], v[184:185]
	v_fma_f64 v[72:73], v[16:17], v[182:183], -v[0:1]
	v_mul_f64 v[0:1], v[16:17], v[184:185]
	v_add_f64 v[16:17], v[128:129], v[24:25]
	v_fma_f64 v[76:77], v[18:19], v[182:183], v[0:1]
	s_waitcnt vmcnt(0) lgkmcnt(0)
	v_mul_f64 v[0:1], v[14:15], v[226:227]
	v_add_f64 v[16:17], v[16:17], v[106:107]
	v_add_f64 v[18:19], v[82:83], -v[40:41]
	v_fma_f64 v[61:62], v[12:13], v[224:225], -v[0:1]
	v_mul_f64 v[0:1], v[12:13], v[226:227]
	v_add_f64 v[12:13], v[80:81], v[34:35]
	v_fma_f64 v[156:157], v[14:15], v[224:225], v[0:1]
	ds_read_b128 v[0:3], v52
	ds_read_b128 v[8:11], v52 offset:1920
	v_add_f64 v[14:15], v[28:29], v[26:27]
	s_waitcnt lgkmcnt(1)
	v_fma_f64 v[12:13], v[12:13], -0.5, v[2:3]
	v_add_f64 v[2:3], v[2:3], v[80:81]
	v_fma_f64 v[6:7], v[6:7], -0.5, v[0:1]
	v_add_f64 v[0:1], v[0:1], v[82:83]
	v_add_f64 v[14:15], v[14:15], v[50:51]
	v_fma_f64 v[32:33], v[18:19], s[26:27], v[12:13]
	v_add_f64 v[2:3], v[2:3], v[34:35]
	v_fma_f64 v[12:13], v[18:19], s[24:25], v[12:13]
	v_add_f64 v[0:1], v[0:1], v[40:41]
	v_add_f64 v[65:66], v[2:3], v[16:17]
	v_add_f64 v[59:60], v[2:3], -v[16:17]
	v_add_f64 v[2:3], v[26:27], v[50:51]
	v_add_f64 v[63:64], v[0:1], v[14:15]
	v_add_f64 v[57:58], v[0:1], -v[14:15]
	v_add_f64 v[0:1], v[24:25], v[106:107]
	v_add_f64 v[24:25], v[24:25], -v[106:107]
	v_add_f64 v[14:15], v[26:27], -v[50:51]
	;; [unrolled: 1-line block ×3, first 2 shown]
	v_fma_f64 v[2:3], v[2:3], -0.5, v[28:29]
	v_fma_f64 v[0:1], v[0:1], -0.5, v[128:129]
	v_fma_f64 v[28:29], v[24:25], s[24:25], v[2:3]
	v_fma_f64 v[2:3], v[24:25], s[26:27], v[2:3]
	;; [unrolled: 1-line block ×4, first 2 shown]
	v_mul_f64 v[14:15], v[2:3], -0.5
	v_mul_f64 v[30:31], v[26:27], s[24:25]
	v_fma_f64 v[14:15], v[0:1], s[24:25], v[14:15]
	v_mul_f64 v[0:1], v[0:1], -0.5
	v_fma_f64 v[30:31], v[28:29], 0.5, v[30:31]
	v_mul_f64 v[28:29], v[28:29], s[26:27]
	v_fma_f64 v[0:1], v[2:3], s[26:27], v[0:1]
	v_add_f64 v[2:3], v[42:43], v[78:79]
	v_fma_f64 v[26:27], v[26:27], 0.5, v[28:29]
	v_fma_f64 v[28:29], v[16:17], s[24:25], v[6:7]
	v_fma_f64 v[6:7], v[16:17], s[26:27], v[6:7]
	v_add_f64 v[16:17], v[68:69], -v[124:125]
	v_add_f64 v[34:35], v[12:13], v[0:1]
	v_add_f64 v[50:51], v[12:13], -v[0:1]
	v_add_f64 v[0:1], v[126:127], v[74:75]
	v_add_f64 v[38:39], v[32:33], v[26:27]
	v_add_f64 v[55:56], v[32:33], -v[26:27]
	v_add_f64 v[32:33], v[6:7], v[14:15]
	v_add_f64 v[48:49], v[6:7], -v[14:15]
	s_waitcnt lgkmcnt(0)
	v_fma_f64 v[2:3], v[2:3], -0.5, v[10:11]
	v_add_f64 v[6:7], v[8:9], v[126:127]
	v_add_f64 v[12:13], v[92:93], v[68:69]
	;; [unrolled: 1-line block ×3, first 2 shown]
	v_add_f64 v[53:54], v[28:29], -v[30:31]
	v_add_f64 v[14:15], v[126:127], -v[74:75]
	v_fma_f64 v[0:1], v[0:1], -0.5, v[8:9]
	v_add_f64 v[8:9], v[10:11], v[42:43]
	v_add_f64 v[10:11], v[94:95], v[70:71]
	;; [unrolled: 1-line block ×4, first 2 shown]
	v_add_f64 v[74:75], v[100:101], -v[110:111]
	v_add_f64 v[8:9], v[8:9], v[78:79]
	v_add_f64 v[10:11], v[10:11], v[122:123]
	;; [unrolled: 1-line block ×4, first 2 shown]
	v_add_f64 v[80:81], v[6:7], -v[10:11]
	v_add_f64 v[82:83], v[8:9], -v[12:13]
	v_add_f64 v[6:7], v[68:69], v[124:125]
	v_add_f64 v[8:9], v[70:71], v[122:123]
	v_add_f64 v[10:11], v[70:71], -v[122:123]
	v_add_f64 v[12:13], v[42:43], -v[78:79]
	v_fma_f64 v[70:71], v[14:15], s[26:27], v[2:3]
	v_fma_f64 v[2:3], v[14:15], s[24:25], v[2:3]
	v_add_f64 v[14:15], v[116:117], v[98:99]
	v_fma_f64 v[6:7], v[6:7], -0.5, v[92:93]
	v_fma_f64 v[8:9], v[8:9], -0.5, v[94:95]
	v_add_f64 v[14:15], v[14:15], v[44:45]
	v_fma_f64 v[18:19], v[10:11], s[26:27], v[6:7]
	v_fma_f64 v[24:25], v[16:17], s[24:25], v[8:9]
	;; [unrolled: 1-line block ×4, first 2 shown]
	v_add_f64 v[16:17], v[118:119], v[100:101]
	v_mul_f64 v[26:27], v[18:19], s[24:25]
	v_mul_f64 v[10:11], v[8:9], -0.5
	v_add_f64 v[16:17], v[16:17], v[110:111]
	v_fma_f64 v[26:27], v[24:25], 0.5, v[26:27]
	v_mul_f64 v[24:25], v[24:25], s[26:27]
	v_fma_f64 v[10:11], v[6:7], s[24:25], v[10:11]
	v_mul_f64 v[6:7], v[6:7], -0.5
	v_fma_f64 v[18:19], v[18:19], 0.5, v[24:25]
	v_fma_f64 v[24:25], v[12:13], s[24:25], v[0:1]
	v_fma_f64 v[0:1], v[12:13], s[26:27], v[0:1]
	;; [unrolled: 1-line block ×3, first 2 shown]
	v_add_f64 v[8:9], v[104:105], v[46:47]
	v_add_f64 v[42:43], v[70:71], v[18:19]
	;; [unrolled: 1-line block ×3, first 2 shown]
	v_add_f64 v[68:69], v[24:25], -v[26:27]
	v_add_f64 v[92:93], v[0:1], v[10:11]
	v_add_f64 v[94:95], v[2:3], v[6:7]
	v_add_f64 v[24:25], v[0:1], -v[10:11]
	v_add_f64 v[26:27], v[2:3], -v[6:7]
	ds_read_b128 v[126:129], v52 offset:3840
	ds_read_b128 v[0:3], v52 offset:5760
	v_add_f64 v[6:7], v[198:199], v[196:197]
	v_add_f64 v[70:71], v[70:71], -v[18:19]
	v_add_f64 v[18:19], v[198:199], -v[196:197]
	s_waitcnt lgkmcnt(1)
	v_add_f64 v[12:13], v[128:129], v[104:105]
	v_add_f64 v[10:11], v[126:127], v[198:199]
	v_fma_f64 v[8:9], v[8:9], -0.5, v[128:129]
	v_fma_f64 v[6:7], v[6:7], -0.5, v[126:127]
	v_add_f64 v[12:13], v[12:13], v[46:47]
	v_add_f64 v[10:11], v[10:11], v[196:197]
	;; [unrolled: 1-line block ×3, first 2 shown]
	v_add_f64 v[124:125], v[12:13], -v[16:17]
	v_add_f64 v[12:13], v[98:99], v[44:45]
	v_add_f64 v[126:127], v[10:11], v[14:15]
	v_add_f64 v[122:123], v[10:11], -v[14:15]
	v_add_f64 v[10:11], v[100:101], v[110:111]
	v_add_f64 v[14:15], v[98:99], -v[44:45]
	v_add_f64 v[16:17], v[104:105], -v[46:47]
	v_fma_f64 v[104:105], v[18:19], s[26:27], v[8:9]
	v_fma_f64 v[8:9], v[18:19], s[24:25], v[8:9]
	v_fma_f64 v[12:13], v[12:13], -0.5, v[116:117]
	v_fma_f64 v[10:11], v[10:11], -0.5, v[118:119]
	v_fma_f64 v[100:101], v[16:17], s[24:25], v[6:7]
	v_fma_f64 v[6:7], v[16:17], s[26:27], v[6:7]
	;; [unrolled: 1-line block ×6, first 2 shown]
	v_mul_f64 v[14:15], v[12:13], -0.5
	v_mul_f64 v[78:79], v[44:45], s[24:25]
	v_fma_f64 v[16:17], v[10:11], s[24:25], v[14:15]
	v_mul_f64 v[10:11], v[10:11], -0.5
	v_fma_f64 v[78:79], v[46:47], 0.5, v[78:79]
	v_mul_f64 v[46:47], v[46:47], s[26:27]
	v_fma_f64 v[10:11], v[12:13], s[26:27], v[10:11]
	v_add_f64 v[12:13], v[6:7], v[16:17]
	v_add_f64 v[16:17], v[6:7], -v[16:17]
	v_add_f64 v[6:7], v[96:97], v[112:113]
	v_fma_f64 v[98:99], v[44:45], 0.5, v[46:47]
	v_add_f64 v[44:45], v[100:101], v[78:79]
	v_add_f64 v[116:117], v[100:101], -v[78:79]
	v_add_f64 v[14:15], v[8:9], v[10:11]
	v_add_f64 v[18:19], v[8:9], -v[10:11]
	v_add_f64 v[8:9], v[84:85], v[88:89]
	s_waitcnt lgkmcnt(0)
	v_fma_f64 v[6:7], v[6:7], -0.5, v[0:1]
	v_add_f64 v[0:1], v[0:1], v[96:97]
	v_add_f64 v[46:47], v[104:105], v[98:99]
	v_add_f64 v[118:119], v[104:105], -v[98:99]
	v_fma_f64 v[74:75], v[8:9], -0.5, v[2:3]
	v_add_f64 v[8:9], v[190:191], v[194:195]
	v_add_f64 v[2:3], v[2:3], v[84:85]
	v_add_f64 v[0:1], v[0:1], v[112:113]
	v_add_f64 v[84:85], v[84:85], -v[88:89]
	v_add_f64 v[78:79], v[8:9], v[90:91]
	v_add_f64 v[8:9], v[108:109], v[192:193]
	;; [unrolled: 1-line block ×3, first 2 shown]
	v_add_f64 v[88:89], v[96:97], -v[112:113]
	v_fma_f64 v[104:105], v[84:85], s[24:25], v[6:7]
	v_add_f64 v[196:197], v[0:1], -v[78:79]
	v_add_f64 v[98:99], v[8:9], v[4:5]
	v_add_f64 v[8:9], v[0:1], v[78:79]
	;; [unrolled: 1-line block ×3, first 2 shown]
	v_add_f64 v[78:79], v[194:195], -v[90:91]
	v_add_f64 v[4:5], v[192:193], -v[4:5]
	v_fma_f64 v[106:107], v[88:89], s[26:27], v[74:75]
	v_add_f64 v[10:11], v[2:3], v[98:99]
	v_add_f64 v[198:199], v[2:3], -v[98:99]
	v_add_f64 v[2:3], v[194:195], v[90:91]
	v_fma_f64 v[0:1], v[0:1], -0.5, v[108:109]
	v_add_f64 v[108:109], v[120:121], -v[156:157]
	v_fma_f64 v[2:3], v[2:3], -0.5, v[190:191]
	v_fma_f64 v[90:91], v[78:79], s[26:27], v[0:1]
	v_fma_f64 v[0:1], v[78:79], s[24:25], v[0:1]
	;; [unrolled: 1-line block ×4, first 2 shown]
	v_mul_f64 v[98:99], v[90:91], s[24:25]
	v_fma_f64 v[4:5], v[84:85], s[26:27], v[6:7]
	v_fma_f64 v[6:7], v[88:89], s[24:25], v[74:75]
	v_mul_f64 v[74:75], v[2:3], -0.5
	v_fma_f64 v[100:101], v[96:97], 0.5, v[98:99]
	v_mul_f64 v[96:97], v[96:97], s[26:27]
	v_fma_f64 v[74:75], v[0:1], s[24:25], v[74:75]
	v_mul_f64 v[0:1], v[0:1], -0.5
	v_fma_f64 v[90:91], v[90:91], 0.5, v[96:97]
	v_add_f64 v[96:97], v[104:105], v[100:101]
	v_add_f64 v[190:191], v[104:105], -v[100:101]
	v_add_f64 v[88:89], v[4:5], v[74:75]
	v_fma_f64 v[0:1], v[2:3], s[26:27], v[0:1]
	v_add_f64 v[98:99], v[106:107], v[90:91]
	v_add_f64 v[192:193], v[106:107], -v[90:91]
	v_add_f64 v[4:5], v[4:5], -v[74:75]
	v_add_f64 v[2:3], v[22:23], v[86:87]
	v_add_f64 v[90:91], v[6:7], v[0:1]
	v_add_f64 v[6:7], v[6:7], -v[0:1]
	v_add_f64 v[0:1], v[102:103], v[72:73]
	v_add_f64 v[2:3], v[2:3], v[76:77]
	v_fma_f64 v[84:85], v[0:1], -0.5, v[20:21]
	v_add_f64 v[0:1], v[86:87], v[76:77]
	v_add_f64 v[86:87], v[86:87], -v[76:77]
	v_fma_f64 v[100:101], v[0:1], -0.5, v[22:23]
	v_add_f64 v[0:1], v[20:21], v[102:103]
	v_add_f64 v[20:21], v[158:159], v[114:115]
	v_add_f64 v[102:103], v[102:103], -v[72:73]
	v_fma_f64 v[110:111], v[86:87], s[24:25], v[84:85]
	v_add_f64 v[0:1], v[0:1], v[72:73]
	v_add_f64 v[74:75], v[20:21], v[61:62]
	;; [unrolled: 1-line block ×3, first 2 shown]
	v_fma_f64 v[112:113], v[102:103], s[26:27], v[100:101]
	v_fma_f64 v[102:103], v[102:103], s[24:25], v[100:101]
	v_add_f64 v[78:79], v[20:21], v[156:157]
	v_add_f64 v[20:21], v[0:1], v[74:75]
	v_add_f64 v[0:1], v[0:1], -v[74:75]
	v_add_f64 v[74:75], v[120:121], v[156:157]
	v_add_f64 v[22:23], v[2:3], v[78:79]
	v_add_f64 v[2:3], v[2:3], -v[78:79]
	v_fma_f64 v[104:105], v[74:75], -0.5, v[134:135]
	v_add_f64 v[74:75], v[114:115], v[61:62]
	v_add_f64 v[61:62], v[114:115], -v[61:62]
	v_fma_f64 v[106:107], v[74:75], -0.5, v[158:159]
	v_fma_f64 v[72:73], v[61:62], s[26:27], v[104:105]
	v_fma_f64 v[61:62], v[61:62], s[24:25], v[104:105]
	v_fma_f64 v[74:75], v[108:109], s[24:25], v[106:107]
	v_fma_f64 v[106:107], v[108:109], s[26:27], v[106:107]
	v_mul_f64 v[76:77], v[72:73], s[24:25]
	v_fma_f64 v[108:109], v[86:87], s[26:27], v[84:85]
	v_mul_f64 v[84:85], v[106:107], -0.5
	v_fma_f64 v[76:77], v[74:75], 0.5, v[76:77]
	v_mul_f64 v[74:75], v[74:75], s[26:27]
	v_fma_f64 v[100:101], v[61:62], s[24:25], v[84:85]
	v_mul_f64 v[61:62], v[61:62], -0.5
	v_fma_f64 v[78:79], v[72:73], 0.5, v[74:75]
	v_add_f64 v[72:73], v[110:111], v[76:77]
	v_add_f64 v[76:77], v[110:111], -v[76:77]
	v_add_f64 v[84:85], v[108:109], v[100:101]
	v_fma_f64 v[61:62], v[106:107], s[26:27], v[61:62]
	v_add_f64 v[74:75], v[112:113], v[78:79]
	v_add_f64 v[78:79], v[112:113], -v[78:79]
	v_add_f64 v[100:101], v[108:109], -v[100:101]
	v_add_f64 v[86:87], v[102:103], v[61:62]
	v_add_f64 v[102:103], v[102:103], -v[61:62]
	ds_write_b128 v52, v[63:66]
	ds_write_b128 v52, v[36:39] offset:9600
	ds_write_b128 v52, v[32:35] offset:19200
	;; [unrolled: 1-line block ×29, first 2 shown]
	s_waitcnt lgkmcnt(0)
	s_waitcnt_vscnt null, 0x0
	s_barrier
	buffer_gl0_inv
	global_load_dwordx4 v[10:13], v52, s[28:29]
	ds_read_b128 v[14:17], v52
	ds_read_b128 v[4:7], v52 offset:1920
	v_add_co_u32 v40, s10, s28, v52
	v_add_co_ci_u32_e64 v41, null, s29, 0, s10
	global_load_dwordx4 v[0:3], v52, s[28:29] offset:1920
	s_waitcnt vmcnt(1) lgkmcnt(1)
	v_mul_f64 v[8:9], v[16:17], v[12:13]
	v_mul_f64 v[12:13], v[14:15], v[12:13]
	v_fma_f64 v[105:106], v[14:15], v[10:11], -v[8:9]
	v_add_co_u32 v8, vcc_lo, 0x1000, v40
	v_add_co_ci_u32_e32 v9, vcc_lo, 0, v41, vcc_lo
	v_fma_f64 v[107:108], v[16:17], v[10:11], v[12:13]
	global_load_dwordx4 v[22:25], v[8:9], off offset:1664
	buffer_load_dword v8, off, s[36:39], 0 offset:492 ; 4-byte Folded Reload
	s_waitcnt vmcnt(0)
	global_load_dwordx4 v[12:15], v8, s[28:29]
	ds_read_b128 v[26:29], v52 offset:5760
	ds_read_b128 v[16:19], v52 offset:3840
	s_waitcnt lgkmcnt(1)
	v_mul_f64 v[8:9], v[28:29], v[24:25]
	v_mul_f64 v[10:11], v[26:27], v[24:25]
	v_fma_f64 v[20:21], v[26:27], v[22:23], -v[8:9]
	v_add_co_u32 v8, vcc_lo, 0x2800, v40
	v_add_co_ci_u32_e32 v9, vcc_lo, 0, v41, vcc_lo
	v_fma_f64 v[22:23], v[28:29], v[22:23], v[10:11]
	v_add_co_u32 v10, vcc_lo, 0x4000, v40
	v_add_co_ci_u32_e32 v11, vcc_lo, 0, v41, vcc_lo
	s_clause 0x1
	global_load_dwordx4 v[26:29], v[8:9], off offset:1280
	global_load_dwordx4 v[30:33], v[10:11], off offset:896
	ds_read_b128 v[34:37], v52 offset:11520
	ds_read_b128 v[42:45], v52 offset:13440
	s_waitcnt vmcnt(1) lgkmcnt(1)
	v_mul_f64 v[8:9], v[36:37], v[28:29]
	v_mul_f64 v[10:11], v[34:35], v[28:29]
	v_fma_f64 v[24:25], v[34:35], v[26:27], -v[8:9]
	v_fma_f64 v[26:27], v[36:37], v[26:27], v[10:11]
	ds_read_b128 v[46:49], v52 offset:17280
	ds_read_b128 v[36:39], v52 offset:15360
	s_waitcnt vmcnt(0) lgkmcnt(1)
	v_mul_f64 v[8:9], v[48:49], v[32:33]
	v_mul_f64 v[10:11], v[46:47], v[32:33]
	v_fma_f64 v[28:29], v[46:47], v[30:31], -v[8:9]
	v_add_co_u32 v8, vcc_lo, 0x5800, v40
	v_add_co_ci_u32_e32 v9, vcc_lo, 0, v41, vcc_lo
	v_fma_f64 v[30:31], v[48:49], v[30:31], v[10:11]
	v_add_co_u32 v10, vcc_lo, 0x7000, v40
	v_add_co_ci_u32_e32 v11, vcc_lo, 0, v41, vcc_lo
	s_clause 0x1
	global_load_dwordx4 v[46:49], v[8:9], off offset:512
	global_load_dwordx4 v[53:56], v[10:11], off offset:128
	ds_read_b128 v[32:35], v52 offset:23040
	ds_read_b128 v[57:60], v52 offset:24960
	s_waitcnt vmcnt(1) lgkmcnt(1)
	v_mul_f64 v[8:9], v[34:35], v[48:49]
	v_mul_f64 v[10:11], v[32:33], v[48:49]
	v_fma_f64 v[32:33], v[32:33], v[46:47], -v[8:9]
	v_fma_f64 v[34:35], v[34:35], v[46:47], v[10:11]
	ds_read_b128 v[46:49], v52 offset:28800
	ds_read_b128 v[61:64], v52 offset:26880
	s_waitcnt vmcnt(0) lgkmcnt(1)
	;; [unrolled: 21-line block ×4, first 2 shown]
	v_mul_f64 v[8:9], v[67:68], v[83:84]
	v_mul_f64 v[10:11], v[65:66], v[83:84]
	v_fma_f64 v[65:66], v[65:66], v[81:82], -v[8:9]
	v_mul_f64 v[8:9], v[6:7], v[2:3]
	v_mul_f64 v[2:3], v[4:5], v[2:3]
	v_fma_f64 v[67:68], v[67:68], v[81:82], v[10:11]
	v_fma_f64 v[8:9], v[4:5], v[0:1], -v[8:9]
	v_fma_f64 v[10:11], v[6:7], v[0:1], v[2:3]
	v_add_co_u32 v0, vcc_lo, 0x1800, v40
	v_add_co_ci_u32_e32 v1, vcc_lo, 0, v41, vcc_lo
	v_add_co_u32 v2, vcc_lo, 0x3000, v40
	v_add_co_ci_u32_e32 v3, vcc_lo, 0, v41, vcc_lo
	s_clause 0x1
	global_load_dwordx4 v[81:84], v[0:1], off offset:1536
	global_load_dwordx4 v[97:100], v[2:3], off offset:1152
	ds_read_b128 v[101:104], v52 offset:7680
	ds_read_b128 v[114:117], v52 offset:9600
	s_waitcnt vmcnt(1) lgkmcnt(1)
	v_mul_f64 v[0:1], v[103:104], v[83:84]
	v_mul_f64 v[2:3], v[101:102], v[83:84]
	v_fma_f64 v[101:102], v[101:102], v[81:82], -v[0:1]
	s_waitcnt vmcnt(0)
	v_mul_f64 v[0:1], v[44:45], v[99:100]
	v_fma_f64 v[103:104], v[103:104], v[81:82], v[2:3]
	v_mul_f64 v[2:3], v[42:43], v[99:100]
	v_fma_f64 v[42:43], v[42:43], v[97:98], -v[0:1]
	v_add_co_u32 v0, vcc_lo, 0x4800, v40
	v_add_co_ci_u32_e32 v1, vcc_lo, 0, v41, vcc_lo
	v_fma_f64 v[44:45], v[44:45], v[97:98], v[2:3]
	v_add_co_u32 v2, vcc_lo, 0x6000, v40
	v_add_co_ci_u32_e32 v3, vcc_lo, 0, v41, vcc_lo
	s_clause 0x1
	global_load_dwordx4 v[81:84], v[0:1], off offset:768
	global_load_dwordx4 v[97:100], v[2:3], off offset:384
	ds_read_b128 v[118:121], v52 offset:19200
	ds_read_b128 v[122:125], v52 offset:21120
	s_waitcnt vmcnt(1) lgkmcnt(1)
	v_mul_f64 v[0:1], v[120:121], v[83:84]
	v_mul_f64 v[2:3], v[118:119], v[83:84]
	v_fma_f64 v[118:119], v[118:119], v[81:82], -v[0:1]
	v_fma_f64 v[120:121], v[120:121], v[81:82], v[2:3]
	s_waitcnt vmcnt(0)
	v_mul_f64 v[0:1], v[59:60], v[99:100]
	v_mul_f64 v[2:3], v[57:58], v[99:100]
	v_fma_f64 v[57:58], v[57:58], v[97:98], -v[0:1]
	v_fma_f64 v[59:60], v[59:60], v[97:98], v[2:3]
	ds_read_b128 v[81:84], v52 offset:30720
	ds_read_b128 v[97:100], v52 offset:32640
	s_waitcnt lgkmcnt(1)
	v_mul_f64 v[0:1], v[83:84], v[14:15]
	v_mul_f64 v[2:3], v[81:82], v[14:15]
	v_fma_f64 v[81:82], v[81:82], v[12:13], -v[0:1]
	v_add_co_u32 v0, vcc_lo, 0x8800, v40
	v_add_co_ci_u32_e32 v1, vcc_lo, 0, v41, vcc_lo
	v_fma_f64 v[83:84], v[83:84], v[12:13], v[2:3]
	v_add_co_u32 v2, vcc_lo, 0xa000, v40
	v_add_co_ci_u32_e32 v3, vcc_lo, 0, v41, vcc_lo
	s_clause 0x1
	global_load_dwordx4 v[12:15], v[0:1], off offset:1664
	global_load_dwordx4 v[126:129], v[2:3], off offset:1280
	s_waitcnt vmcnt(1)
	v_mul_f64 v[0:1], v[75:76], v[14:15]
	v_mul_f64 v[2:3], v[73:74], v[14:15]
	v_fma_f64 v[73:74], v[73:74], v[12:13], -v[0:1]
	v_fma_f64 v[75:76], v[75:76], v[12:13], v[2:3]
	ds_read_b128 v[12:15], v52 offset:42240
	ds_read_b128 v[190:193], v52 offset:44160
	s_waitcnt vmcnt(0) lgkmcnt(1)
	v_mul_f64 v[0:1], v[14:15], v[128:129]
	v_mul_f64 v[2:3], v[12:13], v[128:129]
	v_fma_f64 v[12:13], v[12:13], v[126:127], -v[0:1]
	v_add_co_u32 v0, vcc_lo, 0xb800, v40
	v_add_co_ci_u32_e32 v1, vcc_lo, 0, v41, vcc_lo
	v_fma_f64 v[14:15], v[14:15], v[126:127], v[2:3]
	v_add_co_u32 v2, vcc_lo, 0xd000, v40
	v_add_co_ci_u32_e32 v3, vcc_lo, 0, v41, vcc_lo
	s_clause 0x1
	global_load_dwordx4 v[126:129], v[0:1], off offset:896
	global_load_dwordx4 v[194:197], v[2:3], off offset:512
	s_waitcnt vmcnt(1)
	v_mul_f64 v[0:1], v[91:92], v[128:129]
	v_mul_f64 v[2:3], v[89:90], v[128:129]
	v_fma_f64 v[89:90], v[89:90], v[126:127], -v[0:1]
	v_fma_f64 v[91:92], v[91:92], v[126:127], v[2:3]
	ds_read_b128 v[126:129], v52 offset:53760
	ds_read_b128 v[4:7], v52 offset:55680
	s_waitcnt vmcnt(0) lgkmcnt(1)
	v_mul_f64 v[0:1], v[128:129], v[196:197]
	v_mul_f64 v[2:3], v[126:127], v[196:197]
	v_fma_f64 v[126:127], v[126:127], v[194:195], -v[0:1]
	v_add_co_u32 v0, vcc_lo, 0x800, v40
	v_add_co_ci_u32_e32 v1, vcc_lo, 0, v41, vcc_lo
	v_fma_f64 v[128:129], v[128:129], v[194:195], v[2:3]
	v_add_co_u32 v2, vcc_lo, 0x2000, v40
	v_add_co_ci_u32_e32 v3, vcc_lo, 0, v41, vcc_lo
	s_clause 0x1
	global_load_dwordx4 v[194:197], v[0:1], off offset:1792
	global_load_dwordx4 v[0:3], v[2:3], off offset:1408
	s_waitcnt vmcnt(1)
	v_mul_f64 v[50:51], v[18:19], v[196:197]
	v_mul_f64 v[109:110], v[16:17], v[196:197]
	v_fma_f64 v[16:17], v[16:17], v[194:195], -v[50:51]
	s_waitcnt vmcnt(0)
	v_mul_f64 v[50:51], v[116:117], v[2:3]
	v_mul_f64 v[2:3], v[114:115], v[2:3]
	v_fma_f64 v[18:19], v[18:19], v[194:195], v[109:110]
	v_fma_f64 v[113:114], v[114:115], v[0:1], -v[50:51]
	v_fma_f64 v[115:116], v[116:117], v[0:1], v[2:3]
	v_add_co_u32 v0, vcc_lo, 0x3800, v40
	v_add_co_ci_u32_e32 v1, vcc_lo, 0, v41, vcc_lo
	v_add_co_u32 v50, vcc_lo, 0x5000, v40
	v_add_co_ci_u32_e32 v51, vcc_lo, 0, v41, vcc_lo
	s_clause 0x1
	global_load_dwordx4 v[0:3], v[0:1], off offset:1024
	global_load_dwordx4 v[194:197], v[50:51], off offset:640
	s_waitcnt vmcnt(1)
	v_mul_f64 v[50:51], v[38:39], v[2:3]
	v_mul_f64 v[2:3], v[36:37], v[2:3]
	v_fma_f64 v[36:37], v[36:37], v[0:1], -v[50:51]
	v_fma_f64 v[38:39], v[38:39], v[0:1], v[2:3]
	s_waitcnt vmcnt(0)
	v_mul_f64 v[0:1], v[124:125], v[196:197]
	v_mul_f64 v[2:3], v[122:123], v[196:197]
	v_add_co_u32 v50, vcc_lo, 0x6800, v40
	v_add_co_ci_u32_e32 v51, vcc_lo, 0, v41, vcc_lo
	v_add_co_u32 v109, vcc_lo, 0x7800, v40
	v_add_co_ci_u32_e32 v110, vcc_lo, 0, v41, vcc_lo
	v_fma_f64 v[0:1], v[122:123], v[194:195], -v[0:1]
	v_fma_f64 v[2:3], v[124:125], v[194:195], v[2:3]
	s_clause 0x1
	global_load_dwordx4 v[122:125], v[50:51], off offset:256
	global_load_dwordx4 v[194:197], v[109:110], off offset:1920
	s_waitcnt vmcnt(1)
	v_mul_f64 v[50:51], v[63:64], v[124:125]
	v_mul_f64 v[109:110], v[61:62], v[124:125]
	v_fma_f64 v[61:62], v[61:62], v[122:123], -v[50:51]
	s_waitcnt vmcnt(0)
	v_mul_f64 v[50:51], v[99:100], v[196:197]
	v_fma_f64 v[63:64], v[63:64], v[122:123], v[109:110]
	v_mul_f64 v[109:110], v[97:98], v[196:197]
	v_fma_f64 v[97:98], v[97:98], v[194:195], -v[50:51]
	v_add_co_u32 v50, vcc_lo, 0x9000, v40
	v_add_co_ci_u32_e32 v51, vcc_lo, 0, v41, vcc_lo
	v_fma_f64 v[99:100], v[99:100], v[194:195], v[109:110]
	v_add_co_u32 v109, vcc_lo, 0xa800, v40
	v_add_co_ci_u32_e32 v110, vcc_lo, 0, v41, vcc_lo
	s_clause 0x1
	global_load_dwordx4 v[122:125], v[50:51], off offset:1536
	global_load_dwordx4 v[194:197], v[109:110], off offset:1152
	s_waitcnt vmcnt(1)
	v_mul_f64 v[50:51], v[79:80], v[124:125]
	v_mul_f64 v[109:110], v[77:78], v[124:125]
	v_fma_f64 v[77:78], v[77:78], v[122:123], -v[50:51]
	s_waitcnt vmcnt(0)
	v_mul_f64 v[50:51], v[192:193], v[196:197]
	v_fma_f64 v[79:80], v[79:80], v[122:123], v[109:110]
	v_mul_f64 v[109:110], v[190:191], v[196:197]
	v_fma_f64 v[122:123], v[190:191], v[194:195], -v[50:51]
	v_add_co_u32 v50, vcc_lo, 0xc000, v40
	v_add_co_ci_u32_e32 v51, vcc_lo, 0, v41, vcc_lo
	v_add_co_u32 v40, vcc_lo, 0xd800, v40
	v_add_co_ci_u32_e32 v41, vcc_lo, 0, v41, vcc_lo
	v_fma_f64 v[124:125], v[192:193], v[194:195], v[109:110]
	s_clause 0x1
	global_load_dwordx4 v[190:193], v[50:51], off offset:768
	global_load_dwordx4 v[194:197], v[40:41], off offset:384
	s_waitcnt vmcnt(1)
	v_mul_f64 v[40:41], v[95:96], v[192:193]
	v_mul_f64 v[50:51], v[93:94], v[192:193]
	v_fma_f64 v[93:94], v[93:94], v[190:191], -v[40:41]
	v_fma_f64 v[95:96], v[95:96], v[190:191], v[50:51]
	s_waitcnt vmcnt(0) lgkmcnt(0)
	v_mul_f64 v[40:41], v[6:7], v[196:197]
	v_mul_f64 v[50:51], v[4:5], v[196:197]
	v_fma_f64 v[4:5], v[4:5], v[194:195], -v[40:41]
	v_fma_f64 v[6:7], v[6:7], v[194:195], v[50:51]
	ds_write_b128 v52, v[105:108]
	ds_write_b128 v52, v[20:23] offset:5760
	ds_write_b128 v52, v[24:27] offset:11520
	;; [unrolled: 1-line block ×29, first 2 shown]
	s_waitcnt lgkmcnt(0)
	s_barrier
	buffer_gl0_inv
	ds_read_b128 v[0:3], v52 offset:11520
	ds_read_b128 v[4:7], v52
	ds_read_b128 v[56:59], v52 offset:1920
	ds_read_b128 v[44:47], v52 offset:13440
	;; [unrolled: 1-line block ×4, first 2 shown]
	s_waitcnt lgkmcnt(4)
	v_add_f64 v[12:13], v[4:5], v[0:1]
	s_waitcnt lgkmcnt(1)
	v_add_f64 v[60:61], v[0:1], -v[8:9]
	v_add_f64 v[80:81], v[8:9], -v[0:1]
	;; [unrolled: 1-line block ×4, first 2 shown]
	v_add_f64 v[28:29], v[12:13], v[8:9]
	v_add_f64 v[12:13], v[6:7], v[2:3]
	;; [unrolled: 1-line block ×3, first 2 shown]
	ds_read_b128 v[12:15], v52 offset:34560
	ds_read_b128 v[20:23], v52 offset:36480
	s_waitcnt lgkmcnt(1)
	v_add_f64 v[53:54], v[8:9], v[12:13]
	v_add_f64 v[96:97], v[10:11], -v[14:15]
	v_add_f64 v[62:63], v[10:11], v[14:15]
	v_add_f64 v[98:99], v[8:9], -v[12:13]
	ds_read_b128 v[8:11], v52 offset:46080
	ds_read_b128 v[16:19], v52 offset:48000
	v_fma_f64 v[53:54], v[53:54], -0.5, v[4:5]
	s_waitcnt lgkmcnt(1)
	v_add_f64 v[100:101], v[2:3], -v[10:11]
	v_add_f64 v[64:65], v[0:1], v[8:9]
	v_add_f64 v[102:103], v[0:1], -v[8:9]
	v_add_f64 v[66:67], v[2:3], v[10:11]
	v_add_f64 v[0:1], v[28:29], v[12:13]
	;; [unrolled: 1-line block ×3, first 2 shown]
	v_add_f64 v[78:79], v[8:9], -v[12:13]
	v_add_f64 v[84:85], v[12:13], -v[8:9]
	;; [unrolled: 1-line block ×4, first 2 shown]
	v_fma_f64 v[126:127], v[62:63], -0.5, v[6:7]
	v_fma_f64 v[4:5], v[64:65], -0.5, v[4:5]
	;; [unrolled: 1-line block ×3, first 2 shown]
	v_add_f64 v[90:91], v[0:1], v[8:9]
	v_add_f64 v[92:93], v[2:3], v[10:11]
	ds_read_b128 v[0:3], v52 offset:17280
	ds_read_b128 v[8:11], v52 offset:5760
	ds_read_b128 v[72:75], v52 offset:3840
	ds_read_b128 v[40:43], v52 offset:15360
	ds_read_b128 v[12:15], v52 offset:28800
	ds_read_b128 v[36:39], v52 offset:26880
	ds_read_b128 v[48:51], v52 offset:40320
	ds_read_b128 v[32:35], v52 offset:38400
	v_add_f64 v[88:89], v[82:83], v[88:89]
	s_waitcnt lgkmcnt(6)
	v_add_f64 v[28:29], v[8:9], v[0:1]
	s_waitcnt lgkmcnt(3)
	v_add_f64 v[106:107], v[0:1], -v[12:13]
	s_waitcnt lgkmcnt(1)
	v_add_f64 v[110:111], v[14:15], v[50:51]
	v_add_f64 v[94:95], v[12:13], v[48:49]
	v_add_f64 v[104:105], v[14:15], -v[50:51]
	v_add_f64 v[108:109], v[12:13], -v[0:1]
	;; [unrolled: 1-line block ×5, first 2 shown]
	v_add_f64 v[68:69], v[28:29], v[12:13]
	v_add_f64 v[28:29], v[10:11], v[2:3]
	v_fma_f64 v[110:111], v[110:111], -0.5, v[10:11]
	v_fma_f64 v[128:129], v[94:95], -0.5, v[8:9]
	v_add_f64 v[68:69], v[68:69], v[48:49]
	v_add_f64 v[70:71], v[28:29], v[14:15]
	ds_read_b128 v[12:15], v52 offset:51840
	ds_read_b128 v[28:31], v52 offset:49920
	s_waitcnt lgkmcnt(1)
	v_add_f64 v[118:119], v[2:3], -v[14:15]
	v_add_f64 v[120:121], v[0:1], v[12:13]
	v_add_f64 v[0:1], v[0:1], -v[12:13]
	v_add_f64 v[2:3], v[2:3], v[14:15]
	v_add_f64 v[70:71], v[70:71], v[50:51]
	v_add_f64 v[122:123], v[12:13], -v[48:49]
	v_add_f64 v[124:125], v[14:15], -v[50:51]
	;; [unrolled: 1-line block ×4, first 2 shown]
	v_add_f64 v[12:13], v[68:69], v[12:13]
	v_fma_f64 v[62:63], v[118:119], s[16:17], v[128:129]
	v_fma_f64 v[8:9], v[120:121], -0.5, v[8:9]
	v_fma_f64 v[2:3], v[2:3], -0.5, v[10:11]
	v_add_f64 v[14:15], v[70:71], v[14:15]
	v_add_f64 v[10:11], v[60:61], v[78:79]
	v_fma_f64 v[60:61], v[0:1], s[14:15], v[110:111]
	v_add_f64 v[50:51], v[116:117], v[50:51]
	v_add_f64 v[48:49], v[108:109], v[48:49]
	;; [unrolled: 1-line block ×3, first 2 shown]
	v_add_f64 v[64:65], v[90:91], -v[12:13]
	v_add_f64 v[12:13], v[76:77], v[86:87]
	v_fma_f64 v[62:63], v[104:105], s[12:13], v[62:63]
	v_fma_f64 v[82:83], v[104:105], s[14:15], v[8:9]
	;; [unrolled: 1-line block ×3, first 2 shown]
	v_add_f64 v[70:71], v[92:93], v[14:15]
	v_add_f64 v[66:67], v[92:93], -v[14:15]
	v_add_f64 v[14:15], v[106:107], v[122:123]
	v_add_f64 v[106:107], v[114:115], v[124:125]
	v_fma_f64 v[60:61], v[112:113], s[6:7], v[60:61]
	v_fma_f64 v[82:83], v[118:119], s[12:13], v[82:83]
	;; [unrolled: 1-line block ×7, first 2 shown]
	v_mul_f64 v[76:77], v[60:61], s[12:13]
	v_fma_f64 v[86:87], v[62:63], s[22:23], v[76:77]
	v_fma_f64 v[76:77], v[102:103], s[14:15], v[126:127]
	v_mul_f64 v[62:63], v[62:63], s[6:7]
	v_fma_f64 v[76:77], v[98:99], s[6:7], v[76:77]
	v_fma_f64 v[62:63], v[60:61], s[22:23], v[62:63]
	;; [unrolled: 1-line block ×5, first 2 shown]
	v_add_f64 v[78:79], v[90:91], v[62:63]
	v_add_f64 v[62:63], v[90:91], -v[62:63]
	v_add_f64 v[90:91], v[80:81], v[84:85]
	v_fma_f64 v[80:81], v[112:113], s[16:17], v[2:3]
	v_fma_f64 v[2:3], v[112:113], s[14:15], v[2:3]
	;; [unrolled: 1-line block ×5, first 2 shown]
	v_add_f64 v[76:77], v[60:61], v[86:87]
	v_add_f64 v[60:61], v[60:61], -v[86:87]
	v_fma_f64 v[0:1], v[0:1], s[16:17], v[110:111]
	v_fma_f64 v[80:81], v[50:51], s[8:9], v[80:81]
	;; [unrolled: 1-line block ×4, first 2 shown]
	v_mul_f64 v[84:85], v[80:81], s[16:17]
	v_mul_f64 v[80:81], v[80:81], s[8:9]
	;; [unrolled: 1-line block ×4, first 2 shown]
	v_fma_f64 v[0:1], v[106:107], s[8:9], v[0:1]
	v_fma_f64 v[84:85], v[82:83], s[8:9], v[84:85]
	;; [unrolled: 1-line block ×9, first 2 shown]
	v_mul_f64 v[8:9], v[0:1], s[12:13]
	v_mul_f64 v[0:1], v[0:1], s[20:21]
	v_fma_f64 v[82:83], v[102:103], s[6:7], v[82:83]
	v_fma_f64 v[6:7], v[102:103], s[12:13], v[6:7]
	;; [unrolled: 1-line block ×8, first 2 shown]
	v_add_f64 v[82:83], v[94:95], v[86:87]
	v_add_f64 v[86:87], v[94:95], -v[86:87]
	v_add_f64 v[90:91], v[6:7], v[2:3]
	v_add_f64 v[94:95], v[6:7], -v[2:3]
	v_fma_f64 v[6:7], v[118:119], s[14:15], v[128:129]
	v_add_f64 v[80:81], v[92:93], v[84:85]
	v_add_f64 v[84:85], v[92:93], -v[84:85]
	v_add_f64 v[88:89], v[4:5], v[48:49]
	v_add_f64 v[92:93], v[4:5], -v[48:49]
	v_fma_f64 v[2:3], v[100:101], s[14:15], v[53:54]
	v_fma_f64 v[4:5], v[102:103], s[16:17], v[126:127]
	v_add_f64 v[53:54], v[56:57], v[44:45]
	v_fma_f64 v[6:7], v[104:105], s[6:7], v[6:7]
	v_fma_f64 v[2:3], v[96:97], s[6:7], v[2:3]
	;; [unrolled: 1-line block ×3, first 2 shown]
	v_add_f64 v[53:54], v[53:54], v[24:25]
	v_fma_f64 v[6:7], v[14:15], s[8:9], v[6:7]
	v_fma_f64 v[2:3], v[10:11], s[8:9], v[2:3]
	;; [unrolled: 1-line block ×5, first 2 shown]
	v_add_f64 v[96:97], v[2:3], v[8:9]
	v_add_f64 v[98:99], v[4:5], v[0:1]
	v_add_f64 v[100:101], v[2:3], -v[8:9]
	v_add_f64 v[102:103], v[4:5], -v[0:1]
	ds_read_b128 v[104:107], v52 offset:7680
	ds_read_b128 v[48:51], v52 offset:9600
	;; [unrolled: 1-line block ×10, first 2 shown]
	s_waitcnt lgkmcnt(0)
	s_barrier
	buffer_gl0_inv
	ds_write_b128 v160, v[68:71]
	ds_write_b128 v160, v[76:79] offset:16
	ds_write_b128 v160, v[80:83] offset:32
	ds_write_b128 v160, v[88:91] offset:48
	ds_write_b128 v160, v[96:99] offset:64
	ds_write_b128 v160, v[64:67] offset:80
	ds_write_b128 v160, v[60:63] offset:96
	ds_write_b128 v160, v[84:87] offset:112
	ds_write_b128 v160, v[92:95] offset:128
	ds_write_b128 v160, v[100:103] offset:144
	v_add_f64 v[60:61], v[58:59], v[46:47]
	v_add_f64 v[62:63], v[24:25], v[20:21]
	v_add_f64 v[69:70], v[26:27], -v[22:23]
	v_add_f64 v[64:65], v[44:45], -v[24:25]
	;; [unrolled: 1-line block ×3, first 2 shown]
	v_add_f64 v[76:77], v[26:27], v[22:23]
	v_add_f64 v[78:79], v[24:25], -v[20:21]
	v_add_f64 v[24:25], v[46:47], -v[26:27]
	;; [unrolled: 1-line block ×8, first 2 shown]
	v_add_f64 v[96:97], v[119:120], v[123:124]
	v_add_f64 v[94:95], v[117:118], -v[113:114]
	v_add_f64 v[110:111], v[113:114], v[125:126]
	v_add_f64 v[92:93], v[119:120], -v[123:124]
	v_add_f64 v[98:99], v[117:118], -v[121:122]
	;; [unrolled: 1-line block ×5, first 2 shown]
	v_add_f64 v[60:61], v[60:61], v[26:27]
	v_add_f64 v[26:27], v[44:45], v[16:17]
	;; [unrolled: 1-line block ×4, first 2 shown]
	v_fma_f64 v[76:77], v[76:77], -0.5, v[58:59]
	v_add_f64 v[88:89], v[24:25], v[88:89]
	v_fma_f64 v[96:97], v[96:97], -0.5, v[106:107]
	v_add_f64 v[53:54], v[60:61], v[22:23]
	v_add_f64 v[60:61], v[16:17], -v[20:21]
	v_fma_f64 v[134:135], v[44:45], -0.5, v[58:59]
	v_add_f64 v[20:21], v[46:47], v[16:17]
	v_add_f64 v[16:17], v[104:105], v[113:114]
	;; [unrolled: 1-line block ×5, first 2 shown]
	v_add_f64 v[53:54], v[113:114], -v[117:118]
	v_add_f64 v[112:113], v[113:114], -v[125:126]
	v_add_f64 v[16:17], v[16:17], v[117:118]
	v_add_f64 v[114:115], v[115:116], v[127:128]
	v_add_f64 v[116:117], v[125:126], -v[121:122]
	v_fma_f64 v[156:157], v[46:47], -0.5, v[104:105]
	v_fma_f64 v[104:105], v[110:111], -0.5, v[104:105]
	v_add_f64 v[110:111], v[64:65], v[60:61]
	v_add_f64 v[64:65], v[66:67], v[86:87]
	;; [unrolled: 1-line block ×4, first 2 shown]
	v_add_f64 v[118:119], v[121:122], -v[125:126]
	v_fma_f64 v[24:25], v[112:113], s[14:15], v[96:97]
	v_add_f64 v[16:17], v[16:17], v[121:122]
	v_add_f64 v[120:121], v[127:128], -v[123:124]
	v_fma_f64 v[106:107], v[114:115], -0.5, v[106:107]
	v_add_f64 v[114:115], v[53:54], v[116:117]
	v_add_f64 v[18:19], v[18:19], v[123:124]
	v_add_f64 v[122:123], v[123:124], -v[127:128]
	v_fma_f64 v[24:25], v[98:99], s[6:7], v[24:25]
	v_add_f64 v[124:125], v[16:17], v[125:126]
	v_add_f64 v[100:101], v[100:101], v[120:121]
	;; [unrolled: 1-line block ×4, first 2 shown]
	v_fma_f64 v[128:129], v[62:63], -0.5, v[56:57]
	v_fma_f64 v[62:63], v[26:27], -0.5, v[56:57]
	v_fma_f64 v[26:27], v[108:109], s[16:17], v[156:157]
	v_fma_f64 v[24:25], v[100:101], s[8:9], v[24:25]
	v_add_f64 v[86:87], v[102:103], v[122:123]
	v_add_f64 v[16:17], v[20:21], v[124:125]
	v_add_f64 v[20:21], v[20:21], -v[124:125]
	v_add_f64 v[18:19], v[22:23], v[126:127]
	v_add_f64 v[22:23], v[22:23], -v[126:127]
	v_fma_f64 v[26:27], v[92:93], s[12:13], v[26:27]
	v_mul_f64 v[44:45], v[24:25], s[12:13]
	v_fma_f64 v[26:27], v[114:115], s[8:9], v[26:27]
	v_fma_f64 v[44:45], v[26:27], s[22:23], v[44:45]
	v_mul_f64 v[26:27], v[26:27], s[6:7]
	v_fma_f64 v[46:47], v[24:25], s[22:23], v[26:27]
	v_fma_f64 v[24:25], v[82:83], s[16:17], v[128:129]
	;; [unrolled: 1-line block ×9, first 2 shown]
	v_add_f64 v[24:25], v[53:54], v[44:45]
	v_add_f64 v[44:45], v[53:54], -v[44:45]
	v_fma_f64 v[53:54], v[98:99], s[16:17], v[106:107]
	v_add_f64 v[26:27], v[55:56], v[46:47]
	v_add_f64 v[46:47], v[55:56], -v[46:47]
	v_fma_f64 v[55:56], v[92:93], s[14:15], v[104:105]
	v_fma_f64 v[53:54], v[112:113], s[6:7], v[53:54]
	;; [unrolled: 1-line block ×5, first 2 shown]
	v_mul_f64 v[57:58], v[53:54], s[16:17]
	v_mul_f64 v[53:54], v[53:54], s[8:9]
	v_fma_f64 v[57:58], v[55:56], s[8:9], v[57:58]
	v_fma_f64 v[59:60], v[55:56], s[14:15], v[53:54]
	v_fma_f64 v[53:54], v[69:70], s[14:15], v[62:63]
	v_fma_f64 v[61:62], v[69:70], s[16:17], v[62:63]
	v_fma_f64 v[55:56], v[78:79], s[16:17], v[134:135]
	v_fma_f64 v[53:54], v[82:83], s[12:13], v[53:54]
	v_fma_f64 v[61:62], v[82:83], s[6:7], v[61:62]
	v_fma_f64 v[55:56], v[84:85], s[6:7], v[55:56]
	v_fma_f64 v[82:83], v[82:83], s[14:15], v[128:129]
	v_fma_f64 v[90:91], v[64:65], s[8:9], v[53:54]
	v_fma_f64 v[94:95], v[66:67], s[8:9], v[55:56]
	v_fma_f64 v[69:70], v[69:70], s[6:7], v[82:83]
	v_fma_f64 v[82:83], v[88:89], s[8:9], v[76:77]
	v_add_f64 v[53:54], v[90:91], v[57:58]
	v_add_f64 v[57:58], v[90:91], -v[57:58]
	v_fma_f64 v[90:91], v[64:65], s[8:9], v[61:62]
	v_fma_f64 v[61:62], v[78:79], s[14:15], v[134:135]
	;; [unrolled: 1-line block ×4, first 2 shown]
	v_add_f64 v[55:56], v[94:95], v[59:60]
	v_add_f64 v[59:60], v[94:95], -v[59:60]
	v_fma_f64 v[61:62], v[84:85], s[12:13], v[61:62]
	v_fma_f64 v[63:64], v[108:109], s[6:7], v[63:64]
	;; [unrolled: 1-line block ×10, first 2 shown]
	v_mul_f64 v[65:66], v[61:62], s[16:17]
	v_mul_f64 v[61:62], v[61:62], s[18:19]
	v_fma_f64 v[65:66], v[63:64], s[18:19], v[65:66]
	v_fma_f64 v[80:81], v[63:64], s[14:15], v[61:62]
	v_add_f64 v[61:62], v[90:91], v[65:66]
	v_add_f64 v[63:64], v[67:68], v[80:81]
	v_add_f64 v[67:68], v[67:68], -v[80:81]
	v_fma_f64 v[80:81], v[112:113], s[16:17], v[96:97]
	v_add_f64 v[65:66], v[90:91], -v[65:66]
	v_fma_f64 v[80:81], v[98:99], s[12:13], v[80:81]
	v_fma_f64 v[80:81], v[100:101], s[8:9], v[80:81]
	v_mul_f64 v[78:79], v[80:81], s[12:13]
	v_mul_f64 v[80:81], v[80:81], s[20:21]
	v_fma_f64 v[84:85], v[76:77], s[20:21], v[78:79]
	v_fma_f64 v[86:87], v[76:77], s[6:7], v[80:81]
	v_add_f64 v[76:77], v[69:70], v[84:85]
	v_add_f64 v[78:79], v[82:83], v[86:87]
	v_add_f64 v[80:81], v[69:70], -v[84:85]
	v_add_f64 v[82:83], v[82:83], -v[86:87]
	ds_write_b128 v252, v[16:19]
	ds_write_b128 v252, v[24:27] offset:16
	ds_write_b128 v252, v[53:56] offset:32
	ds_write_b128 v252, v[61:64] offset:48
	ds_write_b128 v252, v[76:79] offset:64
	ds_write_b128 v252, v[20:23] offset:80
	ds_write_b128 v252, v[44:47] offset:96
	ds_write_b128 v252, v[57:60] offset:112
	ds_write_b128 v252, v[65:68] offset:128
	ds_write_b128 v252, v[80:83] offset:144
	v_add_f64 v[16:17], v[72:73], v[40:41]
	v_add_f64 v[18:19], v[74:75], v[42:43]
	;; [unrolled: 1-line block ×3, first 2 shown]
	v_add_f64 v[44:45], v[38:39], -v[34:35]
	v_add_f64 v[22:23], v[40:41], -v[36:37]
	;; [unrolled: 1-line block ×3, first 2 shown]
	v_add_f64 v[26:27], v[38:39], v[34:35]
	v_add_f64 v[46:47], v[42:43], -v[38:39]
	v_add_f64 v[53:54], v[42:43], -v[30:31]
	v_add_f64 v[55:56], v[40:41], v[28:29]
	v_add_f64 v[40:41], v[40:41], -v[28:29]
	v_add_f64 v[57:58], v[28:29], -v[32:33]
	;; [unrolled: 1-line block ×3, first 2 shown]
	v_add_f64 v[69:70], v[2:3], v[10:11]
	v_add_f64 v[61:62], v[0:1], v[8:9]
	v_add_f64 v[63:64], v[2:3], -v[10:11]
	v_add_f64 v[65:66], v[4:5], -v[0:1]
	;; [unrolled: 1-line block ×7, first 2 shown]
	v_add_f64 v[16:17], v[16:17], v[36:37]
	v_add_f64 v[18:19], v[18:19], v[38:39]
	v_add_f64 v[36:37], v[36:37], -v[32:33]
	v_add_f64 v[38:39], v[38:39], -v[42:43]
	v_add_f64 v[42:43], v[42:43], v[30:31]
	v_add_f64 v[84:85], v[4:5], -v[12:13]
	v_fma_f64 v[88:89], v[20:21], -0.5, v[72:73]
	v_add_f64 v[86:87], v[10:11], -v[14:15]
	v_fma_f64 v[55:56], v[55:56], -0.5, v[72:73]
	v_fma_f64 v[71:72], v[26:27], -0.5, v[74:75]
	v_add_f64 v[57:58], v[22:23], v[57:58]
	v_add_f64 v[46:47], v[46:47], v[59:60]
	v_fma_f64 v[61:62], v[61:62], -0.5, v[48:49]
	v_add_f64 v[16:17], v[16:17], v[32:33]
	v_add_f64 v[18:19], v[18:19], v[34:35]
	v_add_f64 v[32:33], v[32:33], -v[28:29]
	v_add_f64 v[34:35], v[34:35], -v[30:31]
	v_fma_f64 v[26:27], v[42:43], -0.5, v[74:75]
	v_fma_f64 v[42:43], v[69:70], -0.5, v[50:51]
	v_add_f64 v[16:17], v[16:17], v[28:29]
	v_add_f64 v[18:19], v[18:19], v[30:31]
	;; [unrolled: 1-line block ×12, first 2 shown]
	v_add_f64 v[28:29], v[12:13], -v[8:9]
	v_add_f64 v[30:31], v[8:9], -v[12:13]
	;; [unrolled: 1-line block ×3, first 2 shown]
	v_fma_f64 v[10:11], v[82:83], s[16:17], v[61:62]
	v_fma_f64 v[48:49], v[0:1], -0.5, v[48:49]
	v_fma_f64 v[50:51], v[2:3], -0.5, v[50:51]
	v_add_f64 v[4:5], v[4:5], v[12:13]
	v_add_f64 v[6:7], v[6:7], v[14:15]
	;; [unrolled: 1-line block ×5, first 2 shown]
	v_fma_f64 v[8:9], v[84:85], s[14:15], v[42:43]
	v_fma_f64 v[10:11], v[63:64], s[12:13], v[10:11]
	v_add_f64 v[28:29], v[38:39], v[34:35]
	v_add_f64 v[0:1], v[16:17], v[4:5]
	v_add_f64 v[4:5], v[16:17], -v[4:5]
	v_add_f64 v[2:3], v[18:19], v[6:7]
	v_add_f64 v[6:7], v[18:19], -v[6:7]
	v_fma_f64 v[8:9], v[76:77], s[6:7], v[8:9]
	v_fma_f64 v[10:11], v[59:60], s[8:9], v[10:11]
	;; [unrolled: 1-line block ×3, first 2 shown]
	v_mul_f64 v[12:13], v[8:9], s[12:13]
	v_fma_f64 v[12:13], v[10:11], s[22:23], v[12:13]
	v_mul_f64 v[10:11], v[10:11], s[6:7]
	v_fma_f64 v[14:15], v[8:9], s[22:23], v[10:11]
	v_fma_f64 v[8:9], v[53:54], s[16:17], v[88:89]
	;; [unrolled: 1-line block ×7, first 2 shown]
	v_add_f64 v[8:9], v[16:17], v[12:13]
	v_add_f64 v[12:13], v[16:17], -v[12:13]
	v_fma_f64 v[16:17], v[76:77], s[16:17], v[50:51]
	v_add_f64 v[10:11], v[18:19], v[14:15]
	v_add_f64 v[14:15], v[18:19], -v[14:15]
	v_fma_f64 v[18:19], v[63:64], s[14:15], v[48:49]
	v_fma_f64 v[16:17], v[84:85], s[6:7], v[16:17]
	;; [unrolled: 1-line block ×5, first 2 shown]
	v_mul_f64 v[20:21], v[16:17], s[16:17]
	v_mul_f64 v[16:17], v[16:17], s[8:9]
	v_fma_f64 v[20:21], v[18:19], s[8:9], v[20:21]
	v_fma_f64 v[22:23], v[18:19], s[14:15], v[16:17]
	;; [unrolled: 1-line block ×8, first 2 shown]
	v_add_f64 v[16:17], v[34:35], v[20:21]
	v_add_f64 v[20:21], v[34:35], -v[20:21]
	v_fma_f64 v[34:35], v[44:45], s[16:17], v[55:56]
	v_add_f64 v[18:19], v[38:39], v[22:23]
	v_add_f64 v[22:23], v[38:39], -v[22:23]
	v_fma_f64 v[34:35], v[53:54], s[6:7], v[34:35]
	v_fma_f64 v[34:35], v[24:25], s[8:9], v[34:35]
	;; [unrolled: 1-line block ×12, first 2 shown]
	v_mul_f64 v[28:29], v[24:25], s[16:17]
	v_mul_f64 v[24:25], v[24:25], s[18:19]
	v_fma_f64 v[32:33], v[76:77], s[12:13], v[32:33]
	v_fma_f64 v[28:29], v[26:27], s[18:19], v[28:29]
	;; [unrolled: 1-line block ×4, first 2 shown]
	v_add_f64 v[24:25], v[34:35], v[28:29]
	v_add_f64 v[26:27], v[38:39], v[30:31]
	v_add_f64 v[28:29], v[34:35], -v[28:29]
	v_add_f64 v[30:31], v[38:39], -v[30:31]
	v_fma_f64 v[34:35], v[53:54], s[14:15], v[88:89]
	v_fma_f64 v[38:39], v[40:41], s[16:17], v[71:72]
	;; [unrolled: 1-line block ×9, first 2 shown]
	v_mul_f64 v[36:37], v[32:33], s[12:13]
	v_mul_f64 v[32:33], v[32:33], s[20:21]
	v_fma_f64 v[36:37], v[34:35], s[20:21], v[36:37]
	v_fma_f64 v[38:39], v[34:35], s[6:7], v[32:33]
	v_add_f64 v[32:33], v[40:41], v[36:37]
	v_add_f64 v[34:35], v[42:43], v[38:39]
	v_add_f64 v[36:37], v[40:41], -v[36:37]
	v_add_f64 v[38:39], v[42:43], -v[38:39]
	ds_write_b128 v189, v[0:3]
	ds_write_b128 v189, v[8:11] offset:16
	ds_write_b128 v189, v[16:19] offset:32
	;; [unrolled: 1-line block ×9, first 2 shown]
	s_waitcnt lgkmcnt(0)
	s_barrier
	buffer_gl0_inv
	ds_read_b128 v[4:7], v52 offset:5760
	ds_read_b128 v[76:79], v52 offset:3840
	s_clause 0x3
	buffer_load_dword v0, off, s[36:39], 0 offset:496
	buffer_load_dword v1, off, s[36:39], 0 offset:500
	buffer_load_dword v2, off, s[36:39], 0 offset:504
	buffer_load_dword v3, off, s[36:39], 0 offset:508
	s_waitcnt vmcnt(0) lgkmcnt(1)
	v_mul_f64 v[8:9], v[2:3], v[6:7]
	v_fma_f64 v[90:91], v[0:1], v[4:5], v[8:9]
	v_mul_f64 v[4:5], v[2:3], v[4:5]
	v_fma_f64 v[92:93], v[0:1], v[6:7], -v[4:5]
	ds_read_b128 v[4:7], v52 offset:11520
	ds_read_b128 v[8:11], v52 offset:13440
	s_clause 0x3
	buffer_load_dword v0, off, s[36:39], 0 offset:512
	buffer_load_dword v1, off, s[36:39], 0 offset:516
	buffer_load_dword v2, off, s[36:39], 0 offset:520
	buffer_load_dword v3, off, s[36:39], 0 offset:524
	s_waitcnt vmcnt(0) lgkmcnt(1)
	v_mul_f64 v[12:13], v[2:3], v[6:7]
	v_fma_f64 v[94:95], v[0:1], v[4:5], v[12:13]
	v_mul_f64 v[4:5], v[2:3], v[4:5]
	v_fma_f64 v[96:97], v[0:1], v[6:7], -v[4:5]
	;; [unrolled: 12-line block ×5, first 2 shown]
	ds_read_b128 v[4:7], v52 offset:34560
	ds_read_b128 v[20:23], v52 offset:36480
	s_clause 0x3
	buffer_load_dword v0, off, s[36:39], 0 offset:576
	buffer_load_dword v1, off, s[36:39], 0 offset:580
	;; [unrolled: 1-line block ×4, first 2 shown]
	s_waitcnt vmcnt(0) lgkmcnt(1)
	v_mul_f64 v[24:25], v[2:3], v[6:7]
	v_fma_f64 v[110:111], v[0:1], v[4:5], v[24:25]
	v_mul_f64 v[4:5], v[2:3], v[4:5]
	v_add_f64 v[146:147], v[102:103], -v[110:111]
	v_fma_f64 v[112:113], v[0:1], v[6:7], -v[4:5]
	ds_read_b128 v[4:7], v52 offset:40320
	ds_read_b128 v[40:43], v52 offset:38400
	s_clause 0x3
	buffer_load_dword v0, off, s[36:39], 0 offset:592
	buffer_load_dword v1, off, s[36:39], 0 offset:596
	;; [unrolled: 1-line block ×4, first 2 shown]
	v_add_f64 v[148:149], v[104:105], -v[112:113]
	s_waitcnt vmcnt(0) lgkmcnt(1)
	v_mul_f64 v[24:25], v[2:3], v[6:7]
	v_fma_f64 v[114:115], v[0:1], v[4:5], v[24:25]
	v_mul_f64 v[4:5], v[2:3], v[4:5]
	v_add_f64 v[152:153], v[106:107], -v[114:115]
	v_fma_f64 v[116:117], v[0:1], v[6:7], -v[4:5]
	ds_read_b128 v[4:7], v52 offset:46080
	ds_read_b128 v[24:27], v52 offset:48000
	s_clause 0x3
	buffer_load_dword v0, off, s[36:39], 0 offset:608
	buffer_load_dword v1, off, s[36:39], 0 offset:612
	;; [unrolled: 1-line block ×4, first 2 shown]
	v_add_f64 v[150:151], v[108:109], -v[116:117]
	s_waitcnt vmcnt(0) lgkmcnt(1)
	v_mul_f64 v[28:29], v[2:3], v[6:7]
	v_fma_f64 v[118:119], v[0:1], v[4:5], v[28:29]
	v_mul_f64 v[4:5], v[2:3], v[4:5]
	v_fma_f64 v[120:121], v[0:1], v[6:7], -v[4:5]
	ds_read_b128 v[4:7], v52 offset:51840
	ds_read_b128 v[48:51], v52 offset:49920
	s_clause 0x3
	buffer_load_dword v0, off, s[36:39], 0 offset:624
	buffer_load_dword v1, off, s[36:39], 0 offset:628
	;; [unrolled: 1-line block ×4, first 2 shown]
	s_waitcnt vmcnt(0) lgkmcnt(1)
	v_mul_f64 v[28:29], v[2:3], v[6:7]
	v_fma_f64 v[122:123], v[0:1], v[4:5], v[28:29]
	v_mul_f64 v[4:5], v[2:3], v[4:5]
	v_fma_f64 v[124:125], v[0:1], v[6:7], -v[4:5]
	ds_read_b128 v[4:7], v52 offset:7680
	ds_read_b128 v[34:37], v52 offset:9600
	s_clause 0x3
	buffer_load_dword v0, off, s[36:39], 0 offset:640
	buffer_load_dword v1, off, s[36:39], 0 offset:644
	buffer_load_dword v2, off, s[36:39], 0 offset:648
	buffer_load_dword v3, off, s[36:39], 0 offset:652
	s_waitcnt vmcnt(0) lgkmcnt(1)
	v_mul_f64 v[28:29], v[2:3], v[6:7]
	v_fma_f64 v[142:143], v[0:1], v[4:5], v[28:29]
	v_mul_f64 v[4:5], v[2:3], v[4:5]
	v_fma_f64 v[140:141], v[0:1], v[6:7], -v[4:5]
	s_clause 0x3
	buffer_load_dword v0, off, s[36:39], 0 offset:672
	buffer_load_dword v1, off, s[36:39], 0 offset:676
	buffer_load_dword v2, off, s[36:39], 0 offset:680
	buffer_load_dword v3, off, s[36:39], 0 offset:684
	s_waitcnt vmcnt(0)
	v_mul_f64 v[4:5], v[2:3], v[10:11]
	v_fma_f64 v[56:57], v[0:1], v[8:9], v[4:5]
	v_mul_f64 v[4:5], v[2:3], v[8:9]
	v_fma_f64 v[53:54], v[0:1], v[10:11], -v[4:5]
	ds_read_b128 v[4:7], v52 offset:19200
	ds_read_b128 v[44:47], v52 offset:21120
	s_clause 0x3
	buffer_load_dword v0, off, s[36:39], 0 offset:656
	buffer_load_dword v1, off, s[36:39], 0 offset:660
	buffer_load_dword v2, off, s[36:39], 0 offset:664
	buffer_load_dword v3, off, s[36:39], 0 offset:668
	s_waitcnt vmcnt(0) lgkmcnt(1)
	v_mul_f64 v[8:9], v[2:3], v[6:7]
	v_fma_f64 v[62:63], v[0:1], v[4:5], v[8:9]
	v_mul_f64 v[4:5], v[2:3], v[4:5]
	v_fma_f64 v[38:39], v[0:1], v[6:7], -v[4:5]
	s_clause 0x3
	buffer_load_dword v0, off, s[36:39], 0 offset:688
	buffer_load_dword v1, off, s[36:39], 0 offset:692
	buffer_load_dword v2, off, s[36:39], 0 offset:696
	buffer_load_dword v3, off, s[36:39], 0 offset:700
	s_waitcnt vmcnt(0)
	;; [unrolled: 22-line block ×4, first 2 shown]
	v_mul_f64 v[4:5], v[2:3], v[26:27]
	v_fma_f64 v[20:21], v[0:1], v[24:25], v[4:5]
	v_mul_f64 v[4:5], v[2:3], v[24:25]
	v_fma_f64 v[194:195], v[0:1], v[26:27], -v[4:5]
	ds_read_b128 v[4:7], v52 offset:53760
	ds_read_b128 v[86:89], v52 offset:55680
	s_clause 0x3
	buffer_load_dword v0, off, s[36:39], 0 offset:768
	buffer_load_dword v1, off, s[36:39], 0 offset:772
	;; [unrolled: 1-line block ×4, first 2 shown]
	s_waitcnt vmcnt(0) lgkmcnt(1)
	v_mul_f64 v[8:9], v[2:3], v[6:7]
	v_fma_f64 v[192:193], v[0:1], v[4:5], v[8:9]
	v_mul_f64 v[4:5], v[2:3], v[4:5]
	v_add_f64 v[8:9], v[98:99], -v[122:123]
	v_fma_f64 v[186:187], v[0:1], v[6:7], -v[4:5]
	s_clause 0x3
	buffer_load_dword v0, off, s[36:39], 0 offset:784
	buffer_load_dword v1, off, s[36:39], 0 offset:788
	;; [unrolled: 1-line block ×4, first 2 shown]
	v_add_f64 v[6:7], v[100:101], -v[124:125]
	s_waitcnt vmcnt(0)
	v_mul_f64 v[4:5], v[2:3], v[36:37]
	v_fma_f64 v[160:161], v[0:1], v[34:35], v[4:5]
	v_mul_f64 v[4:5], v[2:3], v[34:35]
	v_fma_f64 v[144:145], v[0:1], v[36:37], -v[4:5]
	s_clause 0x3
	buffer_load_dword v0, off, s[36:39], 0 offset:800
	buffer_load_dword v1, off, s[36:39], 0 offset:804
	buffer_load_dword v2, off, s[36:39], 0 offset:808
	buffer_load_dword v3, off, s[36:39], 0 offset:812
	s_waitcnt vmcnt(0)
	v_mul_f64 v[4:5], v[2:3], v[14:15]
	v_fma_f64 v[80:81], v[0:1], v[12:13], v[4:5]
	v_mul_f64 v[4:5], v[2:3], v[12:13]
	v_fma_f64 v[130:131], v[0:1], v[14:15], -v[4:5]
	s_clause 0x3
	buffer_load_dword v0, off, s[36:39], 0 offset:816
	buffer_load_dword v1, off, s[36:39], 0 offset:820
	buffer_load_dword v2, off, s[36:39], 0 offset:824
	buffer_load_dword v3, off, s[36:39], 0 offset:828
	;; [unrolled: 10-line block ×4, first 2 shown]
	s_waitcnt vmcnt(0)
	v_mul_f64 v[4:5], v[2:3], v[74:75]
	v_fma_f64 v[34:35], v[0:1], v[72:73], v[4:5]
	v_mul_f64 v[4:5], v[2:3], v[72:73]
	v_add_f64 v[72:73], v[102:103], v[110:111]
	v_fma_f64 v[32:33], v[0:1], v[74:75], -v[4:5]
	s_clause 0x3
	buffer_load_dword v0, off, s[36:39], 0 offset:864
	buffer_load_dword v1, off, s[36:39], 0 offset:868
	;; [unrolled: 1-line block ×4, first 2 shown]
	v_add_f64 v[74:75], v[92:93], v[100:101]
	v_add_f64 v[74:75], v[74:75], v[108:109]
	;; [unrolled: 1-line block ×3, first 2 shown]
	s_waitcnt vmcnt(0)
	v_mul_f64 v[4:5], v[2:3], v[42:43]
	v_fma_f64 v[24:25], v[0:1], v[40:41], v[4:5]
	v_mul_f64 v[4:5], v[2:3], v[40:41]
	v_fma_f64 v[40:41], v[0:1], v[42:43], -v[4:5]
	s_clause 0x3
	buffer_load_dword v0, off, s[36:39], 0 offset:880
	buffer_load_dword v1, off, s[36:39], 0 offset:884
	buffer_load_dword v2, off, s[36:39], 0 offset:888
	buffer_load_dword v3, off, s[36:39], 0 offset:892
	s_waitcnt vmcnt(0)
	v_mul_f64 v[4:5], v[2:3], v[84:85]
	v_fma_f64 v[42:43], v[0:1], v[82:83], v[4:5]
	v_mul_f64 v[4:5], v[2:3], v[82:83]
	v_fma_f64 v[36:37], v[0:1], v[84:85], -v[4:5]
	s_clause 0x3
	buffer_load_dword v0, off, s[36:39], 0 offset:896
	buffer_load_dword v1, off, s[36:39], 0 offset:900
	buffer_load_dword v2, off, s[36:39], 0 offset:904
	buffer_load_dword v3, off, s[36:39], 0 offset:908
	v_add_f64 v[84:85], v[74:75], v[124:125]
	s_waitcnt vmcnt(0)
	v_mul_f64 v[4:5], v[2:3], v[50:51]
	v_fma_f64 v[46:47], v[0:1], v[48:49], v[4:5]
	v_mul_f64 v[4:5], v[2:3], v[48:49]
	v_fma_f64 v[48:49], v[0:1], v[50:51], -v[4:5]
	s_clause 0x3
	buffer_load_dword v0, off, s[36:39], 0 offset:912
	buffer_load_dword v1, off, s[36:39], 0 offset:916
	;; [unrolled: 1-line block ×4, first 2 shown]
	ds_read_b128 v[12:15], v52
	ds_read_b128 v[58:61], v52 offset:1920
	s_waitcnt vmcnt(0) lgkmcnt(0)
	s_barrier
	buffer_gl0_inv
	v_fma_f64 v[126:127], v[72:73], -0.5, v[12:13]
	v_add_f64 v[72:73], v[94:95], v[118:119]
	v_fma_f64 v[128:129], v[72:73], -0.5, v[12:13]
	v_add_f64 v[72:73], v[104:105], v[112:113]
	v_add_f64 v[12:13], v[12:13], v[94:95]
	v_fma_f64 v[134:135], v[72:73], -0.5, v[14:15]
	v_add_f64 v[72:73], v[96:97], v[120:121]
	v_add_f64 v[12:13], v[12:13], v[102:103]
	v_fma_f64 v[156:157], v[72:73], -0.5, v[14:15]
	v_add_f64 v[14:15], v[14:15], v[96:97]
	v_add_f64 v[72:73], v[90:91], v[98:99]
	v_add_f64 v[12:13], v[12:13], v[110:111]
	;; [unrolled: 1-line block ×11, first 2 shown]
	v_add_f64 v[16:17], v[12:13], -v[82:83]
	v_add_f64 v[18:19], v[14:15], -v[84:85]
	;; [unrolled: 1-line block ×4, first 2 shown]
	v_add_f64 v[158:159], v[82:83], v[84:85]
	v_add_f64 v[82:83], v[96:97], -v[104:105]
	v_add_f64 v[84:85], v[120:121], -v[112:113]
	v_add_f64 v[189:190], v[82:83], v[84:85]
	v_add_f64 v[82:83], v[98:99], -v[106:107]
	v_add_f64 v[84:85], v[122:123], -v[114:115]
	;; [unrolled: 3-line block ×3, first 2 shown]
	v_add_f64 v[132:133], v[82:83], v[84:85]
	v_add_f64 v[82:83], v[106:107], v[114:115]
	v_fma_f64 v[10:11], v[82:83], -0.5, v[90:91]
	v_add_f64 v[82:83], v[108:109], v[116:117]
	v_mul_f64 v[4:5], v[2:3], v[88:89]
	v_fma_f64 v[84:85], v[6:7], s[16:17], v[10:11]
	v_fma_f64 v[154:155], v[82:83], -0.5, v[92:93]
	v_fma_f64 v[50:51], v[0:1], v[86:87], v[4:5]
	v_mul_f64 v[4:5], v[2:3], v[86:87]
	v_fma_f64 v[84:85], v[150:151], s[12:13], v[84:85]
	v_fma_f64 v[82:83], v[8:9], s[14:15], v[154:155]
	v_add_f64 v[2:3], v[94:95], -v[118:119]
	v_fma_f64 v[44:45], v[0:1], v[88:89], -v[4:5]
	v_fma_f64 v[84:85], v[12:13], s[8:9], v[84:85]
	v_fma_f64 v[82:83], v[152:153], s[6:7], v[82:83]
	v_add_f64 v[4:5], v[96:97], -v[120:121]
	v_fma_f64 v[82:83], v[132:133], s[8:9], v[82:83]
	v_mul_f64 v[86:87], v[82:83], s[12:13]
	v_mul_f64 v[82:83], v[82:83], s[22:23]
	v_fma_f64 v[86:87], v[84:85], s[22:23], v[86:87]
	v_fma_f64 v[88:89], v[84:85], s[6:7], v[82:83]
	v_fma_f64 v[82:83], v[4:5], s[16:17], v[126:127]
	v_fma_f64 v[84:85], v[2:3], s[14:15], v[134:135]
	v_fma_f64 v[82:83], v[148:149], s[12:13], v[82:83]
	v_fma_f64 v[84:85], v[146:147], s[6:7], v[84:85]
	v_fma_f64 v[0:1], v[158:159], s[8:9], v[82:83]
	v_fma_f64 v[14:15], v[189:190], s[8:9], v[84:85]
	v_add_f64 v[82:83], v[0:1], v[86:87]
	v_add_f64 v[86:87], v[0:1], -v[86:87]
	v_add_f64 v[0:1], v[102:103], -v[94:95]
	;; [unrolled: 1-line block ×4, first 2 shown]
	v_add_f64 v[100:101], v[100:101], v[124:125]
	v_add_f64 v[98:99], v[98:99], v[122:123]
	v_add_f64 v[94:95], v[104:105], -v[96:97]
	v_add_f64 v[104:105], v[114:115], -v[122:123]
	;; [unrolled: 1-line block ×3, first 2 shown]
	v_add_f64 v[84:85], v[14:15], v[88:89]
	v_add_f64 v[88:89], v[14:15], -v[88:89]
	v_add_f64 v[14:15], v[110:111], -v[118:119]
	;; [unrolled: 1-line block ×4, first 2 shown]
	v_fma_f64 v[100:101], v[100:101], -0.5, v[92:93]
	v_fma_f64 v[98:99], v[98:99], -0.5, v[90:91]
	v_add_f64 v[102:103], v[102:103], v[104:105]
	v_add_f64 v[104:105], v[106:107], v[108:109]
	;; [unrolled: 1-line block ×4, first 2 shown]
	v_fma_f64 v[90:91], v[152:153], s[16:17], v[100:101]
	v_fma_f64 v[92:93], v[150:151], s[14:15], v[98:99]
	;; [unrolled: 1-line block ×9, first 2 shown]
	v_add_f64 v[10:11], v[140:141], v[38:39]
	v_fma_f64 v[90:91], v[104:105], s[8:9], v[90:91]
	v_fma_f64 v[92:93], v[102:103], s[8:9], v[92:93]
	;; [unrolled: 1-line block ×5, first 2 shown]
	v_add_f64 v[10:11], v[10:11], v[68:69]
	v_mul_f64 v[94:95], v[90:91], s[16:17]
	v_mul_f64 v[90:91], v[90:91], s[8:9]
	;; [unrolled: 1-line block ×4, first 2 shown]
	v_fma_f64 v[6:7], v[12:13], s[8:9], v[6:7]
	v_add_f64 v[10:11], v[10:11], v[22:23]
	v_fma_f64 v[94:95], v[92:93], s[8:9], v[94:95]
	v_fma_f64 v[96:97], v[92:93], s[14:15], v[90:91]
	;; [unrolled: 1-line block ×6, first 2 shown]
	v_add_f64 v[10:11], v[10:11], v[186:187]
	v_fma_f64 v[90:91], v[4:5], s[12:13], v[90:91]
	v_fma_f64 v[92:93], v[2:3], s[6:7], v[92:93]
	;; [unrolled: 1-line block ×4, first 2 shown]
	v_add_f64 v[90:91], v[106:107], v[94:95]
	v_add_f64 v[94:95], v[106:107], -v[94:95]
	v_fma_f64 v[106:107], v[148:149], s[16:17], v[128:129]
	v_add_f64 v[92:93], v[108:109], v[96:97]
	v_add_f64 v[96:97], v[108:109], -v[96:97]
	v_add_f64 v[108:109], v[68:69], -v[22:23]
	v_fma_f64 v[106:107], v[4:5], s[6:7], v[106:107]
	v_fma_f64 v[4:5], v[4:5], s[14:15], v[126:127]
	;; [unrolled: 1-line block ×5, first 2 shown]
	v_add_f64 v[98:99], v[0:1], v[102:103]
	v_add_f64 v[102:103], v[0:1], -v[102:103]
	v_fma_f64 v[0:1], v[8:9], s[16:17], v[154:155]
	v_fma_f64 v[106:107], v[2:3], s[12:13], v[106:107]
	;; [unrolled: 1-line block ×7, first 2 shown]
	v_add_f64 v[106:107], v[38:39], -v[186:187]
	v_fma_f64 v[0:1], v[132:133], s[8:9], v[0:1]
	v_add_f64 v[100:101], v[14:15], v[104:105]
	v_fma_f64 v[2:3], v[189:190], s[8:9], v[2:3]
	v_add_f64 v[104:105], v[14:15], -v[104:105]
	v_mul_f64 v[8:9], v[0:1], s[12:13]
	v_mul_f64 v[0:1], v[0:1], s[20:21]
	v_fma_f64 v[8:9], v[6:7], s[20:21], v[8:9]
	v_fma_f64 v[0:1], v[6:7], s[6:7], v[0:1]
	v_add_f64 v[6:7], v[60:61], v[53:54]
	v_add_f64 v[113:114], v[4:5], v[8:9]
	v_add_f64 v[117:118], v[4:5], -v[8:9]
	v_add_f64 v[4:5], v[66:67], v[198:199]
	v_add_f64 v[115:116], v[2:3], v[0:1]
	v_add_f64 v[119:120], v[2:3], -v[0:1]
	ds_write_b128 v254, v[72:75]
	ds_write_b128 v254, v[82:85] offset:160
	ds_write_b128 v254, v[90:93] offset:320
	;; [unrolled: 1-line block ×9, first 2 shown]
	v_add_f64 v[8:9], v[142:143], v[62:63]
	v_add_f64 v[6:7], v[6:7], v[66:67]
	v_fma_f64 v[86:87], v[4:5], -0.5, v[60:61]
	v_add_f64 v[4:5], v[53:54], v[194:195]
	v_add_f64 v[102:103], v[62:63], -v[192:193]
	v_add_f64 v[104:105], v[70:71], -v[196:197]
	v_add_f64 v[0:1], v[64:65], v[28:29]
	v_add_f64 v[114:115], v[56:57], -v[20:21]
	v_add_f64 v[116:117], v[64:65], -v[28:29]
	;; [unrolled: 1-line block ×3, first 2 shown]
	v_add_f64 v[2:3], v[56:57], v[20:21]
	v_add_f64 v[8:9], v[8:9], v[70:71]
	;; [unrolled: 1-line block ×3, first 2 shown]
	v_fma_f64 v[88:89], v[4:5], -0.5, v[60:61]
	v_add_f64 v[4:5], v[58:59], v[56:57]
	v_fma_f64 v[0:1], v[0:1], -0.5, v[58:59]
	v_fma_f64 v[18:19], v[114:115], s[14:15], v[86:87]
	v_fma_f64 v[2:3], v[2:3], -0.5, v[58:59]
	v_add_f64 v[8:9], v[8:9], v[196:197]
	v_add_f64 v[14:15], v[6:7], v[194:195]
	;; [unrolled: 1-line block ×3, first 2 shown]
	v_fma_f64 v[18:19], v[116:117], s[6:7], v[18:19]
	v_add_f64 v[8:9], v[8:9], v[192:193]
	v_add_f64 v[6:7], v[14:15], v[10:11]
	v_add_f64 v[14:15], v[14:15], -v[10:11]
	v_add_f64 v[10:11], v[20:21], -v[28:29]
	v_add_f64 v[4:5], v[4:5], v[28:29]
	v_add_f64 v[12:13], v[4:5], v[20:21]
	v_add_f64 v[4:5], v[12:13], v[8:9]
	v_add_f64 v[12:13], v[12:13], -v[8:9]
	v_add_f64 v[8:9], v[56:57], -v[64:65]
	v_add_f64 v[90:91], v[8:9], v[10:11]
	v_add_f64 v[8:9], v[53:54], -v[66:67]
	v_add_f64 v[10:11], v[194:195], -v[198:199]
	v_add_f64 v[92:93], v[8:9], v[10:11]
	v_add_f64 v[8:9], v[62:63], -v[70:71]
	v_add_f64 v[10:11], v[192:193], -v[196:197]
	v_fma_f64 v[18:19], v[92:93], s[8:9], v[18:19]
	v_add_f64 v[94:95], v[8:9], v[10:11]
	v_add_f64 v[8:9], v[38:39], -v[68:69]
	v_add_f64 v[10:11], v[186:187], -v[22:23]
	v_add_f64 v[96:97], v[8:9], v[10:11]
	v_add_f64 v[8:9], v[70:71], v[196:197]
	v_fma_f64 v[98:99], v[8:9], -0.5, v[142:143]
	v_add_f64 v[8:9], v[68:69], v[22:23]
	v_add_f64 v[22:23], v[22:23], -v[186:187]
	v_fma_f64 v[10:11], v[106:107], s[16:17], v[98:99]
	v_fma_f64 v[100:101], v[8:9], -0.5, v[140:141]
	v_fma_f64 v[10:11], v[108:109], s[12:13], v[10:11]
	v_fma_f64 v[8:9], v[102:103], s[14:15], v[100:101]
	v_fma_f64 v[10:11], v[94:95], s[8:9], v[10:11]
	v_fma_f64 v[8:9], v[104:105], s[6:7], v[8:9]
	v_fma_f64 v[8:9], v[96:97], s[8:9], v[8:9]
	v_mul_f64 v[16:17], v[8:9], s[12:13]
	v_mul_f64 v[8:9], v[8:9], s[22:23]
	v_fma_f64 v[16:17], v[10:11], s[22:23], v[16:17]
	v_fma_f64 v[8:9], v[10:11], s[6:7], v[8:9]
	;; [unrolled: 1-line block ×4, first 2 shown]
	v_add_f64 v[74:75], v[18:19], v[8:9]
	v_fma_f64 v[10:11], v[112:113], s[12:13], v[10:11]
	v_add_f64 v[84:85], v[18:19], -v[8:9]
	v_add_f64 v[8:9], v[64:65], -v[56:57]
	v_add_f64 v[55:56], v[68:69], -v[38:39]
	v_add_f64 v[38:39], v[38:39], v[186:187]
	v_add_f64 v[18:19], v[198:199], -v[194:195]
	v_fma_f64 v[0:1], v[112:113], s[6:7], v[0:1]
	v_fma_f64 v[10:11], v[90:91], s[8:9], v[10:11]
	v_add_f64 v[22:23], v[55:56], v[22:23]
	v_fma_f64 v[38:39], v[38:39], -0.5, v[140:141]
	v_fma_f64 v[0:1], v[90:91], s[8:9], v[0:1]
	v_add_f64 v[72:73], v[10:11], v[16:17]
	v_add_f64 v[82:83], v[10:11], -v[16:17]
	v_add_f64 v[10:11], v[28:29], -v[20:21]
	v_add_f64 v[28:29], v[62:63], v[192:193]
	v_add_f64 v[16:17], v[66:67], -v[53:54]
	v_add_f64 v[20:21], v[70:71], -v[62:63]
	;; [unrolled: 1-line block ×4, first 2 shown]
	v_add_f64 v[57:58], v[8:9], v[10:11]
	v_fma_f64 v[28:29], v[28:29], -0.5, v[142:143]
	v_fma_f64 v[8:9], v[104:105], s[16:17], v[38:39]
	v_add_f64 v[59:60], v[16:17], v[18:19]
	v_add_f64 v[20:21], v[20:21], v[53:54]
	v_fma_f64 v[38:39], v[104:105], s[14:15], v[38:39]
	v_fma_f64 v[10:11], v[108:109], s[14:15], v[28:29]
	;; [unrolled: 1-line block ×10, first 2 shown]
	v_mul_f64 v[16:17], v[8:9], s[16:17]
	v_mul_f64 v[8:9], v[8:9], s[8:9]
	v_fma_f64 v[20:21], v[20:21], s[8:9], v[28:29]
	v_mul_f64 v[28:29], v[22:23], s[16:17]
	v_mul_f64 v[22:23], v[22:23], s[18:19]
	v_fma_f64 v[16:17], v[10:11], s[8:9], v[16:17]
	v_fma_f64 v[18:19], v[10:11], s[14:15], v[8:9]
	v_fma_f64 v[8:9], v[112:113], s[14:15], v[2:3]
	v_fma_f64 v[2:3], v[112:113], s[16:17], v[2:3]
	v_fma_f64 v[10:11], v[116:117], s[16:17], v[88:89]
	v_fma_f64 v[28:29], v[20:21], s[18:19], v[28:29]
	v_fma_f64 v[20:21], v[20:21], s[14:15], v[22:23]
	v_fma_f64 v[22:23], v[106:107], s[14:15], v[98:99]
	v_fma_f64 v[8:9], v[110:111], s[12:13], v[8:9]
	v_fma_f64 v[2:3], v[110:111], s[6:7], v[2:3]
	v_fma_f64 v[10:11], v[114:115], s[6:7], v[10:11]
	v_fma_f64 v[22:23], v[108:109], s[6:7], v[22:23]
	v_fma_f64 v[53:54], v[57:58], s[8:9], v[8:9]
	v_fma_f64 v[2:3], v[57:58], s[8:9], v[2:3]
	v_fma_f64 v[55:56], v[59:60], s[8:9], v[10:11]
	v_fma_f64 v[22:23], v[94:95], s[8:9], v[22:23]
	v_add_f64 v[8:9], v[53:54], v[16:17]
	v_add_f64 v[16:17], v[53:54], -v[16:17]
	v_fma_f64 v[53:54], v[116:117], s[14:15], v[88:89]
	v_add_f64 v[57:58], v[2:3], -v[28:29]
	v_add_f64 v[10:11], v[55:56], v[18:19]
	v_add_f64 v[18:19], v[55:56], -v[18:19]
	v_fma_f64 v[53:54], v[114:115], s[12:13], v[53:54]
	v_fma_f64 v[59:60], v[59:60], s[8:9], v[53:54]
	v_add_f64 v[53:54], v[2:3], v[28:29]
	v_fma_f64 v[2:3], v[102:103], s[16:17], v[100:101]
	v_add_f64 v[55:56], v[59:60], v[20:21]
	v_add_f64 v[59:60], v[59:60], -v[20:21]
	v_fma_f64 v[2:3], v[104:105], s[12:13], v[2:3]
	v_fma_f64 v[20:21], v[114:115], s[16:17], v[86:87]
	v_add_f64 v[86:87], v[26:27], -v[24:25]
	v_fma_f64 v[2:3], v[96:97], s[8:9], v[2:3]
	v_fma_f64 v[20:21], v[116:117], s[12:13], v[20:21]
	v_mul_f64 v[28:29], v[2:3], s[12:13]
	v_mul_f64 v[2:3], v[2:3], s[20:21]
	v_fma_f64 v[20:21], v[92:93], s[8:9], v[20:21]
	v_fma_f64 v[28:29], v[22:23], s[20:21], v[28:29]
	;; [unrolled: 1-line block ×3, first 2 shown]
	v_add_f64 v[22:23], v[40:41], -v[48:49]
	v_add_f64 v[61:62], v[0:1], v[28:29]
	v_add_f64 v[65:66], v[0:1], -v[28:29]
	v_add_f64 v[0:1], v[26:27], v[24:25]
	v_add_f64 v[63:64], v[20:21], v[2:3]
	v_add_f64 v[67:68], v[20:21], -v[2:3]
	ds_write_b128 v253, v[4:7]
	ds_write_b128 v253, v[72:75] offset:160
	ds_write_b128 v253, v[8:11] offset:320
	;; [unrolled: 1-line block ×9, first 2 shown]
	v_add_f64 v[2:3], v[78:79], v[130:131]
	v_add_f64 v[4:5], v[160:161], v[136:137]
	v_fma_f64 v[38:39], v[0:1], -0.5, v[76:77]
	v_add_f64 v[0:1], v[80:81], v[46:47]
	v_add_f64 v[6:7], v[144:145], v[138:139]
	v_add_f64 v[71:72], v[34:35], -v[42:43]
	v_add_f64 v[73:74], v[138:139], -v[44:45]
	;; [unrolled: 1-line block ×5, first 2 shown]
	v_add_f64 v[2:3], v[2:3], v[30:31]
	v_add_f64 v[4:5], v[4:5], v[34:35]
	v_fma_f64 v[28:29], v[0:1], -0.5, v[76:77]
	v_add_f64 v[0:1], v[30:31], v[40:41]
	v_add_f64 v[6:7], v[6:7], v[32:33]
	v_add_f64 v[2:3], v[2:3], v[40:41]
	v_add_f64 v[4:5], v[4:5], v[42:43]
	v_fma_f64 v[53:54], v[0:1], -0.5, v[78:79]
	v_add_f64 v[0:1], v[130:131], v[48:49]
	v_add_f64 v[6:7], v[6:7], v[36:37]
	;; [unrolled: 5-line block ×3, first 2 shown]
	v_add_f64 v[75:76], v[32:33], -v[36:37]
	v_add_f64 v[77:78], v[130:131], -v[48:49]
	v_add_f64 v[0:1], v[0:1], v[26:27]
	v_add_f64 v[2:3], v[10:11], v[6:7]
	v_add_f64 v[6:7], v[10:11], -v[6:7]
	v_add_f64 v[10:11], v[46:47], -v[24:25]
	v_add_f64 v[0:1], v[0:1], v[24:25]
	v_add_f64 v[8:9], v[0:1], v[46:47]
	;; [unrolled: 1-line block ×3, first 2 shown]
	v_add_f64 v[4:5], v[8:9], -v[4:5]
	v_add_f64 v[8:9], v[80:81], -v[26:27]
	v_add_f64 v[57:58], v[8:9], v[10:11]
	v_add_f64 v[8:9], v[130:131], -v[30:31]
	v_add_f64 v[10:11], v[48:49], -v[40:41]
	;; [unrolled: 1-line block ×3, first 2 shown]
	v_add_f64 v[59:60], v[8:9], v[10:11]
	v_add_f64 v[8:9], v[136:137], -v[34:35]
	v_add_f64 v[10:11], v[50:51], -v[42:43]
	v_add_f64 v[61:62], v[8:9], v[10:11]
	v_add_f64 v[8:9], v[138:139], -v[32:33]
	v_add_f64 v[10:11], v[44:45], -v[36:37]
	v_add_f64 v[63:64], v[8:9], v[10:11]
	v_add_f64 v[8:9], v[34:35], v[42:43]
	;; [unrolled: 1-line block ×3, first 2 shown]
	v_fma_f64 v[65:66], v[8:9], -0.5, v[160:161]
	v_add_f64 v[8:9], v[32:33], v[36:37]
	v_add_f64 v[32:33], v[32:33], -v[138:139]
	v_add_f64 v[36:37], v[36:37], -v[44:45]
	v_fma_f64 v[10:11], v[73:74], s[16:17], v[65:66]
	v_fma_f64 v[67:68], v[8:9], -0.5, v[144:145]
	v_fma_f64 v[10:11], v[75:76], s[12:13], v[10:11]
	v_fma_f64 v[8:9], v[69:70], s[14:15], v[67:68]
	;; [unrolled: 1-line block ×5, first 2 shown]
	v_mul_f64 v[12:13], v[8:9], s[12:13]
	v_mul_f64 v[8:9], v[8:9], s[22:23]
	v_fma_f64 v[12:13], v[10:11], s[22:23], v[12:13]
	v_fma_f64 v[14:15], v[10:11], s[6:7], v[8:9]
	;; [unrolled: 1-line block ×8, first 2 shown]
	v_add_f64 v[10:11], v[18:19], v[14:15]
	v_add_f64 v[14:15], v[18:19], -v[14:15]
	v_add_f64 v[18:19], v[24:25], -v[46:47]
	;; [unrolled: 1-line block ×3, first 2 shown]
	v_add_f64 v[34:35], v[138:139], v[44:45]
	v_add_f64 v[8:9], v[16:17], v[12:13]
	v_add_f64 v[12:13], v[16:17], -v[12:13]
	v_add_f64 v[16:17], v[26:27], -v[80:81]
	v_add_f64 v[26:27], v[136:137], v[50:51]
	v_add_f64 v[24:25], v[24:25], v[30:31]
	v_fma_f64 v[34:35], v[34:35], -0.5, v[144:145]
	v_add_f64 v[30:31], v[32:33], v[36:37]
	v_add_f64 v[40:41], v[16:17], v[18:19]
	v_fma_f64 v[26:27], v[26:27], -0.5, v[160:161]
	v_fma_f64 v[16:17], v[71:72], s[16:17], v[34:35]
	v_fma_f64 v[34:35], v[71:72], s[14:15], v[34:35]
	;; [unrolled: 1-line block ×12, first 2 shown]
	v_mul_f64 v[20:21], v[16:17], s[16:17]
	v_mul_f64 v[16:17], v[16:17], s[8:9]
	v_mul_f64 v[26:27], v[30:31], s[16:17]
	v_mul_f64 v[30:31], v[30:31], s[18:19]
	v_fma_f64 v[20:21], v[18:19], s[8:9], v[20:21]
	v_fma_f64 v[22:23], v[18:19], s[14:15], v[16:17]
	;; [unrolled: 1-line block ×13, first 2 shown]
	v_add_f64 v[16:17], v[32:33], v[20:21]
	v_add_f64 v[20:21], v[32:33], -v[20:21]
	v_fma_f64 v[32:33], v[86:87], s[14:15], v[55:56]
	v_add_f64 v[18:19], v[36:37], v[22:23]
	v_add_f64 v[22:23], v[36:37], -v[22:23]
	v_add_f64 v[24:25], v[28:29], v[34:35]
	v_add_f64 v[28:29], v[28:29], -v[34:35]
	v_fma_f64 v[34:35], v[77:78], s[14:15], v[38:39]
	v_fma_f64 v[36:37], v[84:85], s[16:17], v[53:54]
	;; [unrolled: 1-line block ×11, first 2 shown]
	v_add_f64 v[26:27], v[32:33], v[30:31]
	v_add_f64 v[30:31], v[32:33], -v[30:31]
	v_fma_f64 v[32:33], v[69:70], s[16:17], v[67:68]
	v_fma_f64 v[32:33], v[71:72], s[12:13], v[32:33]
	;; [unrolled: 1-line block ×3, first 2 shown]
	v_mul_f64 v[36:37], v[32:33], s[12:13]
	v_mul_f64 v[32:33], v[32:33], s[20:21]
	v_fma_f64 v[36:37], v[34:35], s[20:21], v[36:37]
	v_fma_f64 v[38:39], v[34:35], s[6:7], v[32:33]
	s_mul_i32 s6, s1, 0xffff3d00
	s_sub_i32 s6, s6, s0
	v_add_f64 v[32:33], v[40:41], v[36:37]
	v_add_f64 v[34:35], v[42:43], v[38:39]
	v_add_f64 v[36:37], v[40:41], -v[36:37]
	v_add_f64 v[38:39], v[42:43], -v[38:39]
	ds_write_b128 v188, v[0:3]
	ds_write_b128 v188, v[8:11] offset:160
	ds_write_b128 v188, v[16:19] offset:320
	ds_write_b128 v188, v[24:27] offset:480
	ds_write_b128 v188, v[32:35] offset:640
	ds_write_b128 v188, v[4:7] offset:800
	ds_write_b128 v188, v[12:15] offset:960
	ds_write_b128 v188, v[20:23] offset:1120
	ds_write_b128 v188, v[28:31] offset:1280
	ds_write_b128 v188, v[36:39] offset:1440
	s_waitcnt lgkmcnt(0)
	s_barrier
	buffer_gl0_inv
	ds_read_b128 v[4:7], v52 offset:9600
	ds_read_b128 v[0:3], v52 offset:7680
	s_clause 0x3
	buffer_load_dword v10, off, s[36:39], 0 offset:928
	buffer_load_dword v11, off, s[36:39], 0 offset:932
	buffer_load_dword v12, off, s[36:39], 0 offset:936
	buffer_load_dword v13, off, s[36:39], 0 offset:940
	s_waitcnt vmcnt(0) lgkmcnt(1)
	v_mul_f64 v[8:9], v[12:13], v[6:7]
	v_fma_f64 v[94:95], v[10:11], v[4:5], v[8:9]
	v_mul_f64 v[4:5], v[12:13], v[4:5]
	v_fma_f64 v[96:97], v[10:11], v[6:7], -v[4:5]
	ds_read_b128 v[4:7], v52 offset:19200
	ds_read_b128 v[8:11], v52 offset:21120
	s_clause 0x3
	buffer_load_dword v14, off, s[36:39], 0 offset:944
	buffer_load_dword v15, off, s[36:39], 0 offset:948
	buffer_load_dword v16, off, s[36:39], 0 offset:952
	buffer_load_dword v17, off, s[36:39], 0 offset:956
	s_waitcnt vmcnt(0) lgkmcnt(1)
	v_mul_f64 v[12:13], v[16:17], v[6:7]
	v_fma_f64 v[98:99], v[14:15], v[4:5], v[12:13]
	v_mul_f64 v[4:5], v[16:17], v[4:5]
	v_fma_f64 v[100:101], v[14:15], v[6:7], -v[4:5]
	;; [unrolled: 12-line block ×6, first 2 shown]
	s_clause 0x3
	buffer_load_dword v28, off, s[36:39], 0 offset:1040
	buffer_load_dword v29, off, s[36:39], 0 offset:1044
	buffer_load_dword v30, off, s[36:39], 0 offset:1048
	buffer_load_dword v31, off, s[36:39], 0 offset:1052
	s_waitcnt vmcnt(0)
	v_mul_f64 v[4:5], v[30:31], v[10:11]
	v_fma_f64 v[66:67], v[28:29], v[8:9], v[4:5]
	v_mul_f64 v[4:5], v[30:31], v[8:9]
	v_fma_f64 v[70:71], v[28:29], v[10:11], -v[4:5]
	ds_read_b128 v[4:7], v52 offset:30720
	ds_read_b128 v[8:11], v52 offset:32640
	s_clause 0x3
	buffer_load_dword v30, off, s[36:39], 0 offset:1024
	buffer_load_dword v31, off, s[36:39], 0 offset:1028
	buffer_load_dword v32, off, s[36:39], 0 offset:1032
	buffer_load_dword v33, off, s[36:39], 0 offset:1036
	s_waitcnt vmcnt(0) lgkmcnt(1)
	v_mul_f64 v[28:29], v[32:33], v[6:7]
	v_fma_f64 v[74:75], v[30:31], v[4:5], v[28:29]
	v_mul_f64 v[4:5], v[32:33], v[4:5]
	v_fma_f64 v[72:73], v[30:31], v[6:7], -v[4:5]
	s_clause 0x3
	buffer_load_dword v28, off, s[36:39], 0 offset:1056
	buffer_load_dword v29, off, s[36:39], 0 offset:1060
	buffer_load_dword v30, off, s[36:39], 0 offset:1064
	buffer_load_dword v31, off, s[36:39], 0 offset:1068
	s_waitcnt vmcnt(0)
	v_mul_f64 v[4:5], v[30:31], v[18:19]
	v_fma_f64 v[76:77], v[28:29], v[16:17], v[4:5]
	v_mul_f64 v[4:5], v[30:31], v[16:17]
	v_fma_f64 v[78:79], v[28:29], v[18:19], -v[4:5]
	ds_read_b128 v[4:7], v52 offset:49920
	ds_read_b128 v[16:19], v52 offset:51840
	s_clause 0x3
	buffer_load_dword v30, off, s[36:39], 0 offset:1072
	buffer_load_dword v31, off, s[36:39], 0 offset:1076
	buffer_load_dword v32, off, s[36:39], 0 offset:1080
	buffer_load_dword v33, off, s[36:39], 0 offset:1084
	s_waitcnt vmcnt(0) lgkmcnt(1)
	v_mul_f64 v[28:29], v[32:33], v[6:7]
	v_fma_f64 v[194:195], v[30:31], v[4:5], v[28:29]
	v_mul_f64 v[4:5], v[32:33], v[4:5]
	v_fma_f64 v[192:193], v[30:31], v[6:7], -v[4:5]
	;; [unrolled: 22-line block ×4, first 2 shown]
	s_clause 0x3
	buffer_load_dword v24, off, s[36:39], 0 offset:1152
	buffer_load_dword v25, off, s[36:39], 0 offset:1156
	;; [unrolled: 1-line block ×4, first 2 shown]
	s_waitcnt vmcnt(0)
	v_mul_f64 v[4:5], v[26:27], v[18:19]
	v_fma_f64 v[62:63], v[24:25], v[16:17], v[4:5]
	v_mul_f64 v[4:5], v[26:27], v[16:17]
	v_fma_f64 v[60:61], v[24:25], v[18:19], -v[4:5]
	ds_read_b128 v[4:7], v52 offset:15360
	ds_read_b128 v[16:19], v52 offset:17280
	s_clause 0x7
	buffer_load_dword v26, off, s[36:39], 0 offset:1168
	buffer_load_dword v27, off, s[36:39], 0 offset:1172
	;; [unrolled: 1-line block ×8, first 2 shown]
	s_waitcnt vmcnt(4) lgkmcnt(1)
	v_mul_f64 v[24:25], v[28:29], v[6:7]
	v_fma_f64 v[24:25], v[26:27], v[4:5], v[24:25]
	v_mul_f64 v[4:5], v[28:29], v[4:5]
	v_fma_f64 v[28:29], v[26:27], v[6:7], -v[4:5]
	s_waitcnt vmcnt(0)
	v_mul_f64 v[4:5], v[36:37], v[32:33]
	v_fma_f64 v[26:27], v[34:35], v[30:31], v[4:5]
	v_mul_f64 v[4:5], v[36:37], v[30:31]
	v_fma_f64 v[30:31], v[34:35], v[32:33], -v[4:5]
	ds_read_b128 v[4:7], v52 offset:34560
	ds_read_b128 v[82:85], v52 offset:36480
	s_clause 0x3
	buffer_load_dword v36, off, s[36:39], 0 offset:1184
	buffer_load_dword v37, off, s[36:39], 0 offset:1188
	;; [unrolled: 1-line block ×4, first 2 shown]
	s_waitcnt vmcnt(0) lgkmcnt(1)
	v_mul_f64 v[32:33], v[38:39], v[6:7]
	v_fma_f64 v[34:35], v[36:37], v[4:5], v[32:33]
	v_mul_f64 v[4:5], v[38:39], v[4:5]
	s_clause 0x3
	buffer_load_dword v38, off, s[36:39], 0 offset:1216
	buffer_load_dword v39, off, s[36:39], 0 offset:1220
	;; [unrolled: 1-line block ×4, first 2 shown]
	v_fma_f64 v[32:33], v[36:37], v[6:7], -v[4:5]
	s_waitcnt vmcnt(0)
	v_mul_f64 v[4:5], v[40:41], v[10:11]
	v_fma_f64 v[36:37], v[38:39], v[8:9], v[4:5]
	v_mul_f64 v[4:5], v[40:41], v[8:9]
	v_fma_f64 v[38:39], v[38:39], v[10:11], -v[4:5]
	ds_read_b128 v[4:7], v52 offset:53760
	ds_read_b128 v[86:89], v52 offset:55680
	s_clause 0x3
	buffer_load_dword v90, off, s[36:39], 0 offset:1232
	buffer_load_dword v91, off, s[36:39], 0 offset:1236
	;; [unrolled: 1-line block ×4, first 2 shown]
	s_waitcnt vmcnt(0) lgkmcnt(1)
	v_mul_f64 v[8:9], v[92:93], v[6:7]
	v_fma_f64 v[42:43], v[90:91], v[4:5], v[8:9]
	s_clause 0x3
	buffer_load_dword v8, off, s[36:39], 0 offset:1252
	buffer_load_dword v9, off, s[36:39], 0 offset:1256
	;; [unrolled: 1-line block ×4, first 2 shown]
	v_mul_f64 v[4:5], v[92:93], v[4:5]
	v_fma_f64 v[40:41], v[90:91], v[6:7], -v[4:5]
	v_add_f64 v[90:91], v[98:99], v[106:107]
	s_waitcnt vmcnt(0)
	v_mul_f64 v[4:5], v[10:11], v[18:19]
	v_mul_f64 v[6:7], v[10:11], v[16:17]
	v_fma_f64 v[4:5], v[8:9], v[16:17], v[4:5]
	v_fma_f64 v[8:9], v[8:9], v[18:19], -v[6:7]
	s_clause 0x3
	buffer_load_dword v16, off, s[36:39], 0 offset:1268
	buffer_load_dword v17, off, s[36:39], 0 offset:1272
	;; [unrolled: 1-line block ×4, first 2 shown]
	s_waitcnt vmcnt(0)
	v_mul_f64 v[6:7], v[18:19], v[14:15]
	v_mul_f64 v[10:11], v[18:19], v[12:13]
	v_fma_f64 v[6:7], v[16:17], v[12:13], v[6:7]
	v_fma_f64 v[10:11], v[16:17], v[14:15], -v[10:11]
	s_clause 0x3
	buffer_load_dword v16, off, s[36:39], 0 offset:1284
	buffer_load_dword v17, off, s[36:39], 0 offset:1288
	;; [unrolled: 1-line block ×4, first 2 shown]
	s_waitcnt vmcnt(0)
	v_mul_f64 v[12:13], v[18:19], v[84:85]
	v_fma_f64 v[14:15], v[16:17], v[82:83], v[12:13]
	v_mul_f64 v[12:13], v[18:19], v[82:83]
	v_fma_f64 v[12:13], v[16:17], v[84:85], -v[12:13]
	s_clause 0x3
	buffer_load_dword v82, off, s[36:39], 0 offset:1300
	buffer_load_dword v83, off, s[36:39], 0 offset:1304
	;; [unrolled: 1-line block ×4, first 2 shown]
	s_waitcnt vmcnt(0)
	v_mul_f64 v[16:17], v[84:85], v[22:23]
	v_mul_f64 v[18:19], v[84:85], v[20:21]
	v_fma_f64 v[16:17], v[82:83], v[20:21], v[16:17]
	v_fma_f64 v[18:19], v[82:83], v[22:23], -v[18:19]
	s_clause 0x3
	buffer_load_dword v82, off, s[36:39], 0 offset:1320
	buffer_load_dword v83, off, s[36:39], 0 offset:1324
	;; [unrolled: 1-line block ×4, first 2 shown]
	s_waitcnt vmcnt(0) lgkmcnt(0)
	v_mul_f64 v[20:21], v[84:85], v[88:89]
	v_fma_f64 v[22:23], v[82:83], v[86:87], v[20:21]
	v_mul_f64 v[20:21], v[84:85], v[86:87]
	v_fma_f64 v[20:21], v[82:83], v[88:89], -v[20:21]
	ds_read_b128 v[82:85], v52
	ds_read_b128 v[86:89], v52 offset:1920
	s_waitcnt lgkmcnt(1)
	v_fma_f64 v[114:115], v[90:91], -0.5, v[82:83]
	v_add_f64 v[90:91], v[100:101], v[108:109]
	v_add_f64 v[82:83], v[82:83], v[98:99]
	v_fma_f64 v[116:117], v[90:91], -0.5, v[84:85]
	v_add_f64 v[90:91], v[82:83], v[106:107]
	v_add_f64 v[82:83], v[94:95], v[102:103]
	;; [unrolled: 1-line block ×3, first 2 shown]
	v_add_f64 v[106:107], v[98:99], -v[106:107]
	v_add_f64 v[118:119], v[82:83], v[110:111]
	v_add_f64 v[82:83], v[96:97], v[104:105]
	;; [unrolled: 1-line block ×3, first 2 shown]
	v_add_f64 v[108:109], v[100:101], -v[108:109]
	v_add_f64 v[120:121], v[82:83], v[112:113]
	v_add_f64 v[82:83], v[90:91], v[118:119]
	v_add_f64 v[90:91], v[90:91], -v[118:119]
	v_add_f64 v[118:119], v[104:105], v[112:113]
	v_add_f64 v[104:105], v[104:105], -v[112:113]
	;; [unrolled: 2-line block ×3, first 2 shown]
	v_fma_f64 v[120:121], v[106:107], s[24:25], v[116:117]
	v_fma_f64 v[118:119], v[118:119], -0.5, v[96:97]
	v_add_f64 v[96:97], v[102:103], v[110:111]
	v_add_f64 v[102:103], v[102:103], -v[110:111]
	v_fma_f64 v[106:107], v[106:107], s[26:27], v[116:117]
	v_fma_f64 v[110:111], v[96:97], -0.5, v[94:95]
	v_fma_f64 v[94:95], v[102:103], s[24:25], v[118:119]
	v_fma_f64 v[102:103], v[102:103], s[26:27], v[118:119]
	;; [unrolled: 1-line block ×3, first 2 shown]
	v_mul_f64 v[96:97], v[94:95], s[26:27]
	v_mul_f64 v[94:95], v[94:95], 0.5
	v_fma_f64 v[104:105], v[104:105], s[24:25], v[110:111]
	v_mul_f64 v[110:111], v[102:103], s[26:27]
	v_mul_f64 v[102:103], v[102:103], -0.5
	v_fma_f64 v[100:101], v[98:99], 0.5, v[96:97]
	v_fma_f64 v[112:113], v[98:99], s[24:25], v[94:95]
	v_fma_f64 v[98:99], v[108:109], s[26:27], v[114:115]
	;; [unrolled: 1-line block ×3, first 2 shown]
	v_fma_f64 v[110:111], v[104:105], -0.5, v[110:111]
	v_fma_f64 v[115:116], v[104:105], s[24:25], v[102:103]
	v_add_f64 v[96:97], v[120:121], v[112:113]
	v_add_f64 v[94:95], v[98:99], v[100:101]
	v_add_f64 v[98:99], v[98:99], -v[100:101]
	v_add_f64 v[102:103], v[108:109], v[110:111]
	v_add_f64 v[104:105], v[106:107], v[115:116]
	v_add_f64 v[100:101], v[120:121], -v[112:113]
	v_add_f64 v[113:114], v[108:109], -v[110:111]
	;; [unrolled: 1-line block ×3, first 2 shown]
	ds_read_b128 v[117:120], v52 offset:3840
	ds_read_b128 v[121:124], v52 offset:5760
	s_waitcnt lgkmcnt(0)
	s_barrier
	buffer_gl0_inv
	ds_write_b128 v255, v[82:85]
	ds_write_b128 v255, v[94:97] offset:1600
	ds_write_b128 v255, v[102:105] offset:3200
	ds_write_b128 v255, v[90:93] offset:4800
	ds_write_b128 v255, v[98:101] offset:6400
	ds_write_b128 v255, v[113:116] offset:8000
	buffer_load_dword v255, off, s[36:39], 0 offset:1440 ; 4-byte Folded Reload
	v_add_f64 v[82:83], v[66:67], v[76:77]
	v_add_f64 v[84:85], v[88:89], v[70:71]
	v_fma_f64 v[90:91], v[82:83], -0.5, v[86:87]
	v_add_f64 v[82:83], v[70:71], v[78:79]
	v_fma_f64 v[92:93], v[82:83], -0.5, v[88:89]
	v_add_f64 v[82:83], v[86:87], v[66:67]
	v_add_f64 v[88:89], v[84:85], v[78:79]
	v_add_f64 v[78:79], v[70:71], -v[78:79]
	v_add_f64 v[86:87], v[82:83], v[76:77]
	v_add_f64 v[82:83], v[64:65], v[74:75]
	v_add_f64 v[76:77], v[66:67], -v[76:77]
	v_add_f64 v[94:95], v[82:83], v[194:195]
	v_add_f64 v[82:83], v[68:69], v[72:73]
	v_fma_f64 v[100:101], v[76:77], s[24:25], v[92:93]
	v_add_f64 v[96:97], v[82:83], v[192:193]
	v_add_f64 v[82:83], v[86:87], v[94:95]
	v_add_f64 v[86:87], v[86:87], -v[94:95]
	v_add_f64 v[94:95], v[72:73], v[192:193]
	v_add_f64 v[72:73], v[72:73], -v[192:193]
	;; [unrolled: 2-line block ×3, first 2 shown]
	v_fma_f64 v[94:95], v[94:95], -0.5, v[68:69]
	v_add_f64 v[68:69], v[74:75], v[194:195]
	v_add_f64 v[74:75], v[74:75], -v[194:195]
	v_fma_f64 v[96:97], v[68:69], -0.5, v[64:65]
	v_fma_f64 v[64:65], v[74:75], s[24:25], v[94:95]
	v_fma_f64 v[74:75], v[74:75], s[26:27], v[94:95]
	v_fma_f64 v[68:69], v[72:73], s[26:27], v[96:97]
	v_mul_f64 v[66:67], v[64:65], s[26:27]
	v_mul_f64 v[64:65], v[64:65], 0.5
	v_fma_f64 v[72:73], v[72:73], s[24:25], v[96:97]
	v_fma_f64 v[70:71], v[68:69], 0.5, v[66:67]
	v_fma_f64 v[98:99], v[68:69], s[24:25], v[64:65]
	v_fma_f64 v[68:69], v[78:79], s[26:27], v[90:91]
	;; [unrolled: 1-line block ×4, first 2 shown]
	v_mul_f64 v[76:77], v[74:75], s[26:27]
	v_mul_f64 v[74:75], v[74:75], -0.5
	v_add_f64 v[66:67], v[100:101], v[98:99]
	v_add_f64 v[64:65], v[68:69], v[70:71]
	v_add_f64 v[68:69], v[68:69], -v[70:71]
	v_add_f64 v[70:71], v[100:101], -v[98:99]
	v_fma_f64 v[76:77], v[72:73], -0.5, v[76:77]
	v_fma_f64 v[92:93], v[72:73], s[24:25], v[74:75]
	v_add_f64 v[72:73], v[78:79], v[76:77]
	v_add_f64 v[74:75], v[90:91], v[92:93]
	v_add_f64 v[76:77], v[78:79], -v[76:77]
	v_add_f64 v[78:79], v[90:91], -v[92:93]
	s_waitcnt vmcnt(0)
	ds_write_b128 v255, v[82:85]
	ds_write_b128 v255, v[64:67] offset:1600
	ds_write_b128 v255, v[72:75] offset:3200
	;; [unrolled: 1-line block ×5, first 2 shown]
	buffer_load_dword v255, off, s[36:39], 0 offset:1420 ; 4-byte Folded Reload
	v_add_f64 v[64:65], v[48:49], v[56:57]
	v_add_f64 v[66:67], v[119:120], v[50:51]
	v_fma_f64 v[72:73], v[64:65], -0.5, v[117:118]
	v_add_f64 v[64:65], v[50:51], v[58:59]
	v_add_f64 v[70:71], v[66:67], v[58:59]
	v_add_f64 v[58:59], v[50:51], -v[58:59]
	v_fma_f64 v[74:75], v[64:65], -0.5, v[119:120]
	v_add_f64 v[64:65], v[117:118], v[48:49]
	v_add_f64 v[68:69], v[64:65], v[56:57]
	;; [unrolled: 1-line block ×7, first 2 shown]
	v_add_f64 v[68:69], v[68:69], -v[76:77]
	v_add_f64 v[76:77], v[80:81], v[60:61]
	v_add_f64 v[60:61], v[80:81], -v[60:61]
	v_add_f64 v[66:67], v[70:71], v[78:79]
	v_add_f64 v[70:71], v[70:71], -v[78:79]
	v_fma_f64 v[76:77], v[76:77], -0.5, v[46:47]
	v_add_f64 v[46:47], v[54:55], v[62:63]
	v_add_f64 v[53:54], v[54:55], -v[62:63]
	v_add_f64 v[55:56], v[48:49], -v[56:57]
	v_fma_f64 v[62:63], v[46:47], -0.5, v[44:45]
	v_fma_f64 v[44:45], v[53:54], s[24:25], v[76:77]
	v_fma_f64 v[53:54], v[53:54], s[26:27], v[76:77]
	;; [unrolled: 1-line block ×4, first 2 shown]
	v_mul_f64 v[46:47], v[44:45], s[26:27]
	v_mul_f64 v[44:45], v[44:45], 0.5
	v_fma_f64 v[50:51], v[48:49], 0.5, v[46:47]
	v_fma_f64 v[78:79], v[48:49], s[24:25], v[44:45]
	v_fma_f64 v[48:49], v[58:59], s[26:27], v[72:73]
	;; [unrolled: 1-line block ×5, first 2 shown]
	v_mul_f64 v[59:60], v[53:54], s[26:27]
	v_mul_f64 v[53:54], v[53:54], -0.5
	v_add_f64 v[46:47], v[80:81], v[78:79]
	v_add_f64 v[44:45], v[48:49], v[50:51]
	v_add_f64 v[48:49], v[48:49], -v[50:51]
	v_add_f64 v[50:51], v[80:81], -v[78:79]
	v_fma_f64 v[59:60], v[55:56], -0.5, v[59:60]
	v_fma_f64 v[61:62], v[55:56], s[24:25], v[53:54]
	v_add_f64 v[53:54], v[57:58], v[59:60]
	v_add_f64 v[55:56], v[72:73], v[61:62]
	v_add_f64 v[57:58], v[57:58], -v[59:60]
	v_add_f64 v[59:60], v[72:73], -v[61:62]
	s_waitcnt vmcnt(0)
	ds_write_b128 v255, v[64:67]
	ds_write_b128 v255, v[44:47] offset:1600
	ds_write_b128 v255, v[53:56] offset:3200
	;; [unrolled: 1-line block ×5, first 2 shown]
	buffer_load_dword v255, off, s[36:39], 0 offset:1384 ; 4-byte Folded Reload
	v_add_f64 v[44:45], v[26:27], v[36:37]
	v_add_f64 v[46:47], v[123:124], v[30:31]
	v_fma_f64 v[53:54], v[44:45], -0.5, v[121:122]
	v_add_f64 v[44:45], v[30:31], v[38:39]
	v_add_f64 v[50:51], v[46:47], v[38:39]
	v_add_f64 v[38:39], v[30:31], -v[38:39]
	v_fma_f64 v[55:56], v[44:45], -0.5, v[123:124]
	v_add_f64 v[44:45], v[121:122], v[26:27]
	v_add_f64 v[48:49], v[44:45], v[36:37]
	;; [unrolled: 1-line block ×3, first 2 shown]
	v_add_f64 v[36:37], v[26:27], -v[36:37]
	v_add_f64 v[57:58], v[44:45], v[42:43]
	v_add_f64 v[44:45], v[28:29], v[32:33]
	;; [unrolled: 1-line block ×4, first 2 shown]
	v_add_f64 v[48:49], v[48:49], -v[57:58]
	v_add_f64 v[57:58], v[32:33], v[40:41]
	v_add_f64 v[32:33], v[32:33], -v[40:41]
	v_add_f64 v[46:47], v[50:51], v[59:60]
	v_add_f64 v[50:51], v[50:51], -v[59:60]
	v_fma_f64 v[59:60], v[36:37], s[24:25], v[55:56]
	v_fma_f64 v[57:58], v[57:58], -0.5, v[28:29]
	v_add_f64 v[28:29], v[34:35], v[42:43]
	v_add_f64 v[34:35], v[34:35], -v[42:43]
	v_fma_f64 v[42:43], v[28:29], -0.5, v[24:25]
	v_fma_f64 v[24:25], v[34:35], s[24:25], v[57:58]
	v_fma_f64 v[34:35], v[34:35], s[26:27], v[57:58]
	;; [unrolled: 1-line block ×3, first 2 shown]
	v_mul_f64 v[26:27], v[24:25], s[26:27]
	v_mul_f64 v[24:25], v[24:25], 0.5
	v_fma_f64 v[32:33], v[32:33], s[24:25], v[42:43]
	v_fma_f64 v[30:31], v[28:29], 0.5, v[26:27]
	v_fma_f64 v[40:41], v[28:29], s[24:25], v[24:25]
	v_fma_f64 v[28:29], v[38:39], s[26:27], v[53:54]
	;; [unrolled: 1-line block ×3, first 2 shown]
	v_add_f64 v[26:27], v[59:60], v[40:41]
	v_add_f64 v[24:25], v[28:29], v[30:31]
	v_add_f64 v[28:29], v[28:29], -v[30:31]
	v_add_f64 v[30:31], v[59:60], -v[40:41]
	v_fma_f64 v[40:41], v[36:37], s[26:27], v[55:56]
	v_mul_f64 v[36:37], v[34:35], s[26:27]
	v_mul_f64 v[34:35], v[34:35], -0.5
	v_fma_f64 v[36:37], v[32:33], -0.5, v[36:37]
	v_fma_f64 v[42:43], v[32:33], s[24:25], v[34:35]
	v_add_f64 v[32:33], v[38:39], v[36:37]
	v_add_f64 v[34:35], v[40:41], v[42:43]
	v_add_f64 v[36:37], v[38:39], -v[36:37]
	v_add_f64 v[38:39], v[40:41], -v[42:43]
	s_waitcnt vmcnt(0)
	ds_write_b128 v255, v[44:47]
	ds_write_b128 v255, v[24:27] offset:1600
	ds_write_b128 v255, v[32:35] offset:3200
	ds_write_b128 v255, v[48:51] offset:4800
	ds_write_b128 v255, v[28:31] offset:6400
	ds_write_b128 v255, v[36:39] offset:8000
	buffer_load_dword v255, off, s[36:39], 0 offset:1316 ; 4-byte Folded Reload
	v_add_f64 v[24:25], v[6:7], v[16:17]
	v_fma_f64 v[28:29], v[24:25], -0.5, v[0:1]
	v_add_f64 v[24:25], v[10:11], v[18:19]
	v_add_f64 v[0:1], v[0:1], v[6:7]
	v_fma_f64 v[30:31], v[24:25], -0.5, v[2:3]
	v_add_f64 v[24:25], v[0:1], v[16:17]
	v_add_f64 v[0:1], v[4:5], v[14:15]
	;; [unrolled: 1-line block ×3, first 2 shown]
	v_add_f64 v[16:17], v[6:7], -v[16:17]
	v_add_f64 v[32:33], v[0:1], v[22:23]
	v_add_f64 v[0:1], v[8:9], v[12:13]
	;; [unrolled: 1-line block ×3, first 2 shown]
	v_add_f64 v[18:19], v[10:11], -v[18:19]
	v_add_f64 v[34:35], v[0:1], v[20:21]
	v_add_f64 v[0:1], v[24:25], v[32:33]
	v_add_f64 v[24:25], v[24:25], -v[32:33]
	v_add_f64 v[32:33], v[12:13], v[20:21]
	v_add_f64 v[12:13], v[12:13], -v[20:21]
	;; [unrolled: 2-line block ×3, first 2 shown]
	v_fma_f64 v[34:35], v[16:17], s[24:25], v[30:31]
	v_fma_f64 v[32:33], v[32:33], -0.5, v[8:9]
	v_add_f64 v[8:9], v[14:15], v[22:23]
	v_add_f64 v[14:15], v[14:15], -v[22:23]
	v_fma_f64 v[22:23], v[8:9], -0.5, v[4:5]
	v_fma_f64 v[4:5], v[14:15], s[24:25], v[32:33]
	v_fma_f64 v[14:15], v[14:15], s[26:27], v[32:33]
	;; [unrolled: 1-line block ×3, first 2 shown]
	v_mul_f64 v[6:7], v[4:5], s[26:27]
	v_mul_f64 v[4:5], v[4:5], 0.5
	v_fma_f64 v[12:13], v[12:13], s[24:25], v[22:23]
	v_fma_f64 v[10:11], v[8:9], 0.5, v[6:7]
	v_fma_f64 v[20:21], v[8:9], s[24:25], v[4:5]
	v_fma_f64 v[8:9], v[18:19], s[26:27], v[28:29]
	v_fma_f64 v[18:19], v[18:19], s[24:25], v[28:29]
	v_add_f64 v[6:7], v[34:35], v[20:21]
	v_add_f64 v[4:5], v[8:9], v[10:11]
	v_add_f64 v[8:9], v[8:9], -v[10:11]
	v_add_f64 v[10:11], v[34:35], -v[20:21]
	v_fma_f64 v[20:21], v[16:17], s[26:27], v[30:31]
	v_mul_f64 v[16:17], v[14:15], s[26:27]
	v_mul_f64 v[14:15], v[14:15], -0.5
	v_fma_f64 v[16:17], v[12:13], -0.5, v[16:17]
	v_fma_f64 v[22:23], v[12:13], s[24:25], v[14:15]
	v_add_f64 v[12:13], v[18:19], v[16:17]
	v_add_f64 v[14:15], v[20:21], v[22:23]
	v_add_f64 v[16:17], v[18:19], -v[16:17]
	v_add_f64 v[18:19], v[20:21], -v[22:23]
	s_waitcnt vmcnt(0)
	ds_write_b128 v255, v[0:3]
	ds_write_b128 v255, v[4:7] offset:1600
	ds_write_b128 v255, v[12:15] offset:3200
	;; [unrolled: 1-line block ×5, first 2 shown]
	s_waitcnt lgkmcnt(0)
	s_barrier
	buffer_gl0_inv
	ds_read_b128 v[4:7], v52 offset:9600
	ds_read_b128 v[0:3], v52 offset:7680
	s_clause 0x3
	buffer_load_dword v12, off, s[36:39], 0 offset:1368
	buffer_load_dword v13, off, s[36:39], 0 offset:1372
	;; [unrolled: 1-line block ×4, first 2 shown]
	ds_read_b128 v[8:11], v52 offset:19200
	s_waitcnt vmcnt(2)
	v_mov_b32_e32 v25, v13
	s_waitcnt vmcnt(0) lgkmcnt(2)
	v_mul_f64 v[16:17], v[14:15], v[6:7]
	v_mul_f64 v[18:19], v[14:15], v[4:5]
	v_mov_b32_e32 v24, v12
	ds_read_b128 v[12:15], v52 offset:21120
	s_clause 0x3
	buffer_load_dword v26, off, s[36:39], 0 offset:1388
	buffer_load_dword v27, off, s[36:39], 0 offset:1392
	;; [unrolled: 1-line block ×4, first 2 shown]
	v_fma_f64 v[66:67], v[24:25], v[4:5], v[16:17]
	v_fma_f64 v[68:69], v[24:25], v[6:7], -v[18:19]
	ds_read_b128 v[4:7], v52 offset:28800
	ds_read_b128 v[16:19], v52 offset:26880
	s_waitcnt vmcnt(0) lgkmcnt(3)
	v_mul_f64 v[20:21], v[28:29], v[10:11]
	v_mul_f64 v[22:23], v[28:29], v[8:9]
	v_fma_f64 v[70:71], v[26:27], v[8:9], v[20:21]
	v_fma_f64 v[72:73], v[26:27], v[10:11], -v[22:23]
	s_clause 0x3
	buffer_load_dword v24, off, s[36:39], 0 offset:1352
	buffer_load_dword v25, off, s[36:39], 0 offset:1356
	;; [unrolled: 1-line block ×4, first 2 shown]
	ds_read_b128 v[8:11], v52 offset:38400
	s_waitcnt vmcnt(0) lgkmcnt(2)
	v_mul_f64 v[20:21], v[26:27], v[6:7]
	v_mul_f64 v[22:23], v[26:27], v[4:5]
	v_fma_f64 v[74:75], v[24:25], v[4:5], v[20:21]
	v_fma_f64 v[76:77], v[24:25], v[6:7], -v[22:23]
	ds_read_b128 v[4:7], v52 offset:40320
	s_clause 0x3
	buffer_load_dword v24, off, s[36:39], 0 offset:1336
	buffer_load_dword v25, off, s[36:39], 0 offset:1340
	;; [unrolled: 1-line block ×4, first 2 shown]
	s_waitcnt vmcnt(0) lgkmcnt(1)
	v_mul_f64 v[20:21], v[26:27], v[10:11]
	v_mul_f64 v[22:23], v[26:27], v[8:9]
	v_fma_f64 v[78:79], v[24:25], v[8:9], v[20:21]
	v_fma_f64 v[80:81], v[24:25], v[10:11], -v[22:23]
	ds_read_b128 v[8:11], v52 offset:48000
	ds_read_b128 v[20:23], v52 offset:46080
	s_clause 0x3
	buffer_load_dword v26, off, s[36:39], 0 offset:1404
	buffer_load_dword v27, off, s[36:39], 0 offset:1408
	;; [unrolled: 1-line block ×4, first 2 shown]
	s_waitcnt vmcnt(0) lgkmcnt(1)
	v_mul_f64 v[24:25], v[28:29], v[10:11]
	v_fma_f64 v[82:83], v[26:27], v[8:9], v[24:25]
	v_mul_f64 v[8:9], v[28:29], v[8:9]
	v_fma_f64 v[84:85], v[26:27], v[10:11], -v[8:9]
	ds_read_b128 v[8:11], v52 offset:11520
	ds_read_b128 v[24:27], v52 offset:13440
	s_waitcnt lgkmcnt(1)
	v_mul_f64 v[28:29], v[246:247], v[10:11]
	v_fma_f64 v[86:87], v[244:245], v[8:9], v[28:29]
	s_clause 0x3
	buffer_load_dword v28, off, s[36:39], 0 offset:1424
	buffer_load_dword v29, off, s[36:39], 0 offset:1428
	;; [unrolled: 1-line block ×4, first 2 shown]
	v_mul_f64 v[8:9], v[246:247], v[8:9]
	v_fma_f64 v[88:89], v[244:245], v[10:11], -v[8:9]
	s_waitcnt vmcnt(0)
	v_mul_f64 v[8:9], v[30:31], v[14:15]
	v_fma_f64 v[90:91], v[28:29], v[12:13], v[8:9]
	v_mul_f64 v[8:9], v[30:31], v[12:13]
	v_fma_f64 v[92:93], v[28:29], v[14:15], -v[8:9]
	ds_read_b128 v[8:11], v52 offset:30720
	ds_read_b128 v[12:15], v52 offset:32640
	s_waitcnt lgkmcnt(1)
	v_mul_f64 v[28:29], v[242:243], v[10:11]
	v_fma_f64 v[94:95], v[240:241], v[8:9], v[28:29]
	v_mul_f64 v[8:9], v[242:243], v[8:9]
	v_fma_f64 v[96:97], v[240:241], v[10:11], -v[8:9]
	v_mul_f64 v[8:9], v[238:239], v[6:7]
	v_fma_f64 v[98:99], v[236:237], v[4:5], v[8:9]
	v_mul_f64 v[4:5], v[238:239], v[4:5]
	v_add_f64 v[128:129], v[90:91], v[98:99]
	v_fma_f64 v[100:101], v[236:237], v[6:7], -v[4:5]
	ds_read_b128 v[4:7], v52 offset:49920
	ds_read_b128 v[8:11], v52 offset:51840
	s_waitcnt lgkmcnt(1)
	v_mul_f64 v[28:29], v[250:251], v[6:7]
	v_fma_f64 v[102:103], v[248:249], v[4:5], v[28:29]
	v_mul_f64 v[4:5], v[250:251], v[4:5]
	v_add_f64 v[138:139], v[94:95], -v[102:103]
	v_fma_f64 v[104:105], v[248:249], v[6:7], -v[4:5]
	v_mul_f64 v[4:5], v[230:231], v[26:27]
	v_fma_f64 v[106:107], v[228:229], v[24:25], v[4:5]
	v_mul_f64 v[4:5], v[230:231], v[24:25]
	v_fma_f64 v[108:109], v[228:229], v[26:27], -v[4:5]
	ds_read_b128 v[4:7], v52 offset:23040
	ds_read_b128 v[24:27], v52 offset:24960
	s_waitcnt lgkmcnt(1)
	v_mul_f64 v[28:29], v[222:223], v[6:7]
	v_fma_f64 v[110:111], v[220:221], v[4:5], v[28:29]
	v_mul_f64 v[4:5], v[222:223], v[4:5]
	v_fma_f64 v[112:113], v[220:221], v[6:7], -v[4:5]
	v_mul_f64 v[4:5], v[218:219], v[14:15]
	v_fma_f64 v[114:115], v[216:217], v[12:13], v[4:5]
	v_mul_f64 v[4:5], v[218:219], v[12:13]
	v_fma_f64 v[116:117], v[216:217], v[14:15], -v[4:5]
	ds_read_b128 v[4:7], v52 offset:42240
	ds_read_b128 v[12:15], v52 offset:44160
	s_waitcnt lgkmcnt(1)
	v_mul_f64 v[28:29], v[234:235], v[6:7]
	v_fma_f64 v[118:119], v[232:233], v[4:5], v[28:29]
	v_mul_f64 v[4:5], v[234:235], v[4:5]
	;; [unrolled: 11-line block ×5, first 2 shown]
	v_fma_f64 v[44:45], v[204:205], v[6:7], -v[4:5]
	v_mul_f64 v[4:5], v[172:173], v[10:11]
	v_mul_f64 v[6:7], v[164:165], v[16:17]
	v_fma_f64 v[30:31], v[170:171], v[8:9], v[4:5]
	v_mul_f64 v[4:5], v[172:173], v[8:9]
	v_fma_f64 v[38:39], v[162:163], v[18:19], -v[6:7]
	v_mul_f64 v[6:7], v[168:169], v[24:25]
	v_mul_f64 v[8:9], v[184:185], v[22:23]
	v_fma_f64 v[28:29], v[170:171], v[10:11], -v[4:5]
	v_mul_f64 v[4:5], v[164:165], v[18:19]
	v_mul_f64 v[10:11], v[184:185], v[20:21]
	v_add_f64 v[18:19], v[72:73], v[80:81]
	v_fma_f64 v[40:41], v[166:167], v[26:27], -v[6:7]
	v_fma_f64 v[60:61], v[182:183], v[20:21], v[8:9]
	v_fma_f64 v[36:37], v[162:163], v[16:17], v[4:5]
	v_mul_f64 v[4:5], v[168:169], v[26:27]
	v_add_f64 v[16:17], v[70:71], v[78:79]
	v_fma_f64 v[62:63], v[182:183], v[22:23], -v[10:11]
	ds_read_b128 v[20:23], v52 offset:1920
	v_add_f64 v[26:27], v[72:73], -v[80:81]
	v_fma_f64 v[48:49], v[166:167], v[24:25], v[4:5]
	v_add_f64 v[24:25], v[76:77], v[84:85]
	ds_read_b128 v[4:7], v52
	s_waitcnt lgkmcnt(0)
	v_add_f64 v[8:9], v[4:5], v[70:71]
	v_fma_f64 v[4:5], v[16:17], -0.5, v[4:5]
	v_add_f64 v[10:11], v[6:7], v[72:73]
	v_fma_f64 v[6:7], v[18:19], -0.5, v[6:7]
	;; [unrolled: 2-line block ×3, first 2 shown]
	v_add_f64 v[24:25], v[74:75], -v[82:83]
	v_add_f64 v[72:73], v[66:67], v[74:75]
	v_add_f64 v[68:69], v[68:69], v[76:77]
	;; [unrolled: 1-line block ×3, first 2 shown]
	v_fma_f64 v[126:127], v[26:27], s[24:25], v[4:5]
	v_fma_f64 v[16:17], v[16:17], -0.5, v[66:67]
	v_fma_f64 v[66:67], v[24:25], s[24:25], v[18:19]
	v_fma_f64 v[18:19], v[24:25], s[26:27], v[18:19]
	v_add_f64 v[24:25], v[76:77], -v[84:85]
	v_fma_f64 v[76:77], v[26:27], s[26:27], v[4:5]
	v_add_f64 v[4:5], v[70:71], -v[78:79]
	v_add_f64 v[70:71], v[10:11], v[80:81]
	v_mul_f64 v[78:79], v[226:227], v[12:13]
	v_add_f64 v[80:81], v[96:97], v[104:105]
	v_mul_f64 v[10:11], v[226:227], v[14:15]
	v_add_f64 v[72:73], v[72:73], v[82:83]
	v_add_f64 v[68:69], v[68:69], v[84:85]
	v_mul_f64 v[26:27], v[66:67], s[26:27]
	v_mul_f64 v[66:67], v[66:67], 0.5
	v_fma_f64 v[8:9], v[24:25], s[26:27], v[16:17]
	v_fma_f64 v[16:17], v[24:25], s[24:25], v[16:17]
	v_mul_f64 v[24:25], v[18:19], s[26:27]
	v_mul_f64 v[18:19], v[18:19], -0.5
	v_fma_f64 v[82:83], v[4:5], s[24:25], v[6:7]
	v_fma_f64 v[84:85], v[4:5], s[26:27], v[6:7]
	v_fma_f64 v[136:137], v[224:225], v[14:15], -v[78:79]
	v_add_f64 v[78:79], v[94:95], v[102:103]
	v_fma_f64 v[80:81], v[80:81], -0.5, v[88:89]
	v_fma_f64 v[134:135], v[224:225], v[12:13], v[10:11]
	v_add_f64 v[10:11], v[70:71], v[68:69]
	v_add_f64 v[4:5], v[74:75], -v[72:73]
	v_add_f64 v[6:7], v[70:71], -v[68:69]
	v_fma_f64 v[68:69], v[128:129], -0.5, v[20:21]
	v_add_f64 v[70:71], v[92:93], -v[100:101]
	v_fma_f64 v[26:27], v[8:9], 0.5, v[26:27]
	v_fma_f64 v[66:67], v[8:9], s[24:25], v[66:67]
	v_fma_f64 v[130:131], v[16:17], -0.5, v[24:25]
	v_fma_f64 v[132:133], v[16:17], s[24:25], v[18:19]
	v_add_f64 v[24:25], v[92:93], v[100:101]
	v_add_f64 v[8:9], v[74:75], v[72:73]
	;; [unrolled: 1-line block ×3, first 2 shown]
	v_fma_f64 v[78:79], v[78:79], -0.5, v[86:87]
	v_fma_f64 v[92:93], v[70:71], s[26:27], v[68:69]
	v_add_f64 v[16:17], v[76:77], v[26:27]
	v_add_f64 v[18:19], v[82:83], v[66:67]
	v_add_f64 v[12:13], v[76:77], -v[26:27]
	v_add_f64 v[14:15], v[82:83], -v[66:67]
	v_add_f64 v[66:67], v[20:21], v[90:91]
	v_fma_f64 v[74:75], v[24:25], -0.5, v[22:23]
	v_add_f64 v[26:27], v[84:85], v[132:133]
	v_add_f64 v[76:77], v[90:91], -v[98:99]
	v_add_f64 v[82:83], v[86:87], v[94:95]
	v_add_f64 v[86:87], v[96:97], -v[104:105]
	v_add_f64 v[22:23], v[84:85], -v[132:133]
	v_fma_f64 v[84:85], v[138:139], s[24:25], v[80:81]
	v_add_f64 v[24:25], v[126:127], v[130:131]
	v_add_f64 v[20:21], v[126:127], -v[130:131]
	v_fma_f64 v[94:95], v[70:71], s[24:25], v[68:69]
	v_add_f64 v[70:71], v[88:89], v[96:97]
	v_fma_f64 v[80:81], v[138:139], s[26:27], v[80:81]
	v_add_f64 v[88:89], v[110:111], v[118:119]
	v_add_f64 v[96:97], v[112:113], v[120:121]
	;; [unrolled: 1-line block ×4, first 2 shown]
	ds_read_b128 v[66:69], v52 offset:3840
	v_fma_f64 v[100:101], v[76:77], s[24:25], v[74:75]
	v_fma_f64 v[126:127], v[76:77], s[26:27], v[74:75]
	v_add_f64 v[74:75], v[82:83], v[102:103]
	v_fma_f64 v[76:77], v[86:87], s[26:27], v[78:79]
	v_mul_f64 v[82:83], v[84:85], s[26:27]
	v_mul_f64 v[84:85], v[84:85], 0.5
	v_fma_f64 v[78:79], v[86:87], s[24:25], v[78:79]
	v_add_f64 v[86:87], v[70:71], v[104:105]
	ds_read_b128 v[70:73], v52 offset:5760
	v_fma_f64 v[82:83], v[76:77], 0.5, v[82:83]
	v_fma_f64 v[84:85], v[76:77], s[24:25], v[84:85]
	s_waitcnt lgkmcnt(1)
	v_add_f64 v[76:77], v[66:67], v[110:111]
	v_fma_f64 v[66:67], v[88:89], -0.5, v[66:67]
	v_fma_f64 v[88:89], v[96:97], -0.5, v[68:69]
	v_mul_f64 v[96:97], v[80:81], s[26:27]
	v_mul_f64 v[80:81], v[80:81], -0.5
	v_add_f64 v[68:69], v[68:69], v[112:113]
	v_add_f64 v[104:105], v[76:77], v[118:119]
	v_add_f64 v[76:77], v[112:113], -v[120:121]
	v_fma_f64 v[96:97], v[78:79], -0.5, v[96:97]
	v_fma_f64 v[102:103], v[78:79], s[24:25], v[80:81]
	v_add_f64 v[78:79], v[116:117], v[124:125]
	v_add_f64 v[112:113], v[68:69], v[120:121]
	v_add_f64 v[68:69], v[110:111], -v[118:119]
	v_add_f64 v[80:81], v[114:115], v[122:123]
	v_add_f64 v[110:111], v[114:115], -v[122:123]
	v_add_f64 v[114:115], v[106:107], v[114:115]
	v_fma_f64 v[120:121], v[76:77], s[26:27], v[66:67]
	v_fma_f64 v[78:79], v[78:79], -0.5, v[108:109]
	v_add_f64 v[108:109], v[108:109], v[116:117]
	v_fma_f64 v[128:129], v[68:69], s[26:27], v[88:89]
	v_fma_f64 v[80:81], v[80:81], -0.5, v[106:107]
	v_add_f64 v[114:115], v[114:115], v[122:123]
	v_fma_f64 v[122:123], v[68:69], s[24:25], v[88:89]
	v_add_f64 v[88:89], v[126:127], v[102:103]
	v_add_f64 v[68:69], v[98:99], v[86:87]
	v_fma_f64 v[106:107], v[110:111], s[24:25], v[78:79]
	v_fma_f64 v[78:79], v[110:111], s[26:27], v[78:79]
	v_add_f64 v[110:111], v[116:117], -v[124:125]
	v_add_f64 v[108:109], v[108:109], v[124:125]
	v_fma_f64 v[124:125], v[76:77], s[24:25], v[66:67]
	v_add_f64 v[66:67], v[90:91], v[74:75]
	v_add_f64 v[74:75], v[90:91], -v[74:75]
	v_add_f64 v[76:77], v[98:99], -v[86:87]
	v_add_f64 v[86:87], v[94:95], v[96:97]
	v_add_f64 v[90:91], v[94:95], -v[96:97]
	v_add_f64 v[94:95], v[104:105], v[114:115]
	v_add_f64 v[98:99], v[104:105], -v[114:115]
	v_mul_f64 v[118:119], v[106:107], s[26:27]
	v_mul_f64 v[106:107], v[106:107], 0.5
	v_fma_f64 v[116:117], v[110:111], s[26:27], v[80:81]
	v_fma_f64 v[80:81], v[110:111], s[24:25], v[80:81]
	v_mul_f64 v[110:111], v[78:79], s[26:27]
	v_mul_f64 v[78:79], v[78:79], -0.5
	v_add_f64 v[96:97], v[112:113], v[108:109]
	v_fma_f64 v[118:119], v[116:117], 0.5, v[118:119]
	v_fma_f64 v[116:117], v[116:117], s[24:25], v[106:107]
	v_fma_f64 v[130:131], v[80:81], -0.5, v[110:111]
	v_fma_f64 v[132:133], v[80:81], s[24:25], v[78:79]
	v_add_f64 v[78:79], v[92:93], v[82:83]
	v_add_f64 v[82:83], v[92:93], -v[82:83]
	v_add_f64 v[92:93], v[126:127], -v[102:103]
	v_add_f64 v[80:81], v[100:101], v[84:85]
	v_add_f64 v[84:85], v[100:101], -v[84:85]
	v_add_f64 v[100:101], v[112:113], -v[108:109]
	v_add_f64 v[102:103], v[120:121], v[118:119]
	v_add_f64 v[106:107], v[120:121], -v[118:119]
	v_add_f64 v[118:119], v[56:57], v[54:55]
	v_add_f64 v[120:121], v[58:59], v[64:65]
	v_add_f64 v[104:105], v[122:123], v[116:117]
	v_add_f64 v[108:109], v[122:123], -v[116:117]
	s_waitcnt lgkmcnt(0)
	v_add_f64 v[122:123], v[70:71], v[56:57]
	v_add_f64 v[56:57], v[56:57], -v[54:55]
	v_add_f64 v[110:111], v[124:125], v[130:131]
	v_add_f64 v[114:115], v[124:125], -v[130:131]
	;; [unrolled: 2-line block ×3, first 2 shown]
	v_fma_f64 v[70:71], v[118:119], -0.5, v[70:71]
	v_fma_f64 v[118:119], v[120:121], -0.5, v[72:73]
	v_add_f64 v[72:73], v[72:73], v[58:59]
	v_add_f64 v[58:59], v[58:59], -v[64:65]
	v_add_f64 v[120:121], v[42:43], v[44:45]
	v_add_f64 v[53:54], v[122:123], v[54:55]
	;; [unrolled: 1-line block ×3, first 2 shown]
	v_fma_f64 v[122:123], v[58:59], s[26:27], v[70:71]
	v_fma_f64 v[58:59], v[58:59], s[24:25], v[70:71]
	v_add_f64 v[70:71], v[46:47], v[50:51]
	v_fma_f64 v[72:73], v[56:57], s[24:25], v[118:119]
	v_fma_f64 v[55:56], v[56:57], s[26:27], v[118:119]
	v_fma_f64 v[118:119], v[120:121], -0.5, v[34:35]
	v_add_f64 v[120:121], v[46:47], -v[50:51]
	v_add_f64 v[46:47], v[32:33], v[46:47]
	v_add_f64 v[34:35], v[34:35], v[42:43]
	v_fma_f64 v[32:33], v[70:71], -0.5, v[32:33]
	v_add_f64 v[70:71], v[42:43], -v[44:45]
	v_fma_f64 v[42:43], v[120:121], s[24:25], v[118:119]
	v_add_f64 v[46:47], v[46:47], v[50:51]
	v_add_f64 v[34:35], v[34:35], v[44:45]
	v_fma_f64 v[50:51], v[70:71], s[26:27], v[32:33]
	v_fma_f64 v[32:33], v[70:71], s[24:25], v[32:33]
	;; [unrolled: 1-line block ×3, first 2 shown]
	v_mul_f64 v[44:45], v[42:43], s[26:27]
	v_mul_f64 v[42:43], v[42:43], 0.5
	v_add_f64 v[118:119], v[36:37], v[60:61]
	v_add_f64 v[120:121], v[38:39], v[62:63]
	v_fma_f64 v[44:45], v[50:51], 0.5, v[44:45]
	v_fma_f64 v[42:43], v[50:51], s[24:25], v[42:43]
	v_add_f64 v[50:51], v[0:1], v[36:37]
	v_fma_f64 v[0:1], v[118:119], -0.5, v[0:1]
	v_fma_f64 v[118:119], v[120:121], -0.5, v[2:3]
	v_mul_f64 v[120:121], v[70:71], s[26:27]
	v_mul_f64 v[70:71], v[70:71], -0.5
	v_add_f64 v[2:3], v[2:3], v[38:39]
	v_add_f64 v[38:39], v[38:39], -v[62:63]
	v_add_f64 v[124:125], v[50:51], v[60:61]
	v_add_f64 v[50:51], v[48:49], -v[134:135]
	v_fma_f64 v[120:121], v[32:33], -0.5, v[120:121]
	v_fma_f64 v[70:71], v[32:33], s[24:25], v[70:71]
	v_add_f64 v[32:33], v[40:41], v[136:137]
	v_add_f64 v[62:63], v[2:3], v[62:63]
	v_add_f64 v[2:3], v[36:37], -v[60:61]
	v_add_f64 v[36:37], v[48:49], v[134:135]
	v_add_f64 v[48:49], v[30:31], v[48:49]
	v_fma_f64 v[128:129], v[38:39], s[26:27], v[0:1]
	v_fma_f64 v[32:33], v[32:33], -0.5, v[28:29]
	v_add_f64 v[28:29], v[28:29], v[40:41]
	v_fma_f64 v[138:139], v[2:3], s[26:27], v[118:119]
	v_fma_f64 v[30:31], v[36:37], -0.5, v[30:31]
	v_add_f64 v[60:61], v[48:49], v[134:135]
	v_fma_f64 v[134:135], v[2:3], s[24:25], v[118:119]
	v_add_f64 v[2:3], v[64:65], v[34:35]
	v_fma_f64 v[36:37], v[50:51], s[24:25], v[32:33]
	v_fma_f64 v[32:33], v[50:51], s[26:27], v[32:33]
	v_add_f64 v[50:51], v[40:41], -v[136:137]
	v_add_f64 v[126:127], v[28:29], v[136:137]
	v_fma_f64 v[136:137], v[38:39], s[24:25], v[0:1]
	v_add_f64 v[0:1], v[53:54], v[46:47]
	v_add_f64 v[38:39], v[72:73], -v[42:43]
	v_add_f64 v[28:29], v[53:54], -v[46:47]
	;; [unrolled: 1-line block ×4, first 2 shown]
	v_mul_f64 v[48:49], v[36:37], s[26:27]
	v_mul_f64 v[36:37], v[36:37], 0.5
	v_fma_f64 v[40:41], v[50:51], s[26:27], v[30:31]
	v_fma_f64 v[30:31], v[50:51], s[24:25], v[30:31]
	v_mul_f64 v[50:51], v[32:33], s[26:27]
	v_mul_f64 v[32:33], v[32:33], -0.5
	v_fma_f64 v[130:131], v[40:41], 0.5, v[48:49]
	v_fma_f64 v[132:133], v[40:41], s[24:25], v[36:37]
	v_fma_f64 v[118:119], v[30:31], -0.5, v[50:51]
	v_fma_f64 v[140:141], v[30:31], s[24:25], v[32:33]
	v_add_f64 v[30:31], v[64:65], -v[34:35]
	v_add_f64 v[32:33], v[122:123], v[44:45]
	v_add_f64 v[34:35], v[72:73], v[42:43]
	;; [unrolled: 1-line block ×4, first 2 shown]
	v_add_f64 v[36:37], v[122:123], -v[44:45]
	v_add_f64 v[44:45], v[58:59], -v[120:121]
	v_add_f64 v[48:49], v[124:125], v[60:61]
	v_add_f64 v[50:51], v[62:63], v[126:127]
	v_add_f64 v[55:56], v[62:63], -v[126:127]
	v_add_f64 v[57:58], v[128:129], v[130:131]
	v_add_f64 v[59:60], v[134:135], v[132:133]
	v_add_f64 v[61:62], v[128:129], -v[130:131]
	v_add_f64 v[63:64], v[134:135], -v[132:133]
	v_add_f64 v[70:71], v[136:137], v[118:119]
	v_add_f64 v[72:73], v[138:139], v[140:141]
	v_add_f64 v[118:119], v[136:137], -v[118:119]
	v_add_f64 v[120:121], v[138:139], -v[140:141]
	ds_write_b128 v52, v[8:11]
	ds_write_b128 v52, v[16:19] offset:9600
	ds_write_b128 v52, v[24:27] offset:19200
	;; [unrolled: 1-line block ×29, first 2 shown]
	s_waitcnt lgkmcnt(0)
	s_barrier
	buffer_gl0_inv
	ds_read_b128 v[8:11], v52
	ds_read_b128 v[4:7], v52 offset:1920
	s_clause 0x3
	buffer_load_dword v0, off, s[36:39], 0 offset:460
	buffer_load_dword v1, off, s[36:39], 0 offset:464
	;; [unrolled: 1-line block ×4, first 2 shown]
	ds_read_b128 v[12:15], v52 offset:5760
	ds_read_b128 v[16:19], v52 offset:11520
	s_clause 0x2
	buffer_load_dword v46, off, s[36:39], 0 offset:4
	buffer_load_dword v47, off, s[36:39], 0 offset:8
	;; [unrolled: 1-line block ×3, first 2 shown]
	s_waitcnt vmcnt(3) lgkmcnt(3)
	v_mul_f64 v[20:21], v[2:3], v[10:11]
	v_mul_f64 v[22:23], v[2:3], v[8:9]
	v_mov_b32_e32 v31, v1
	v_mov_b32_e32 v30, v0
	ds_read_b128 v[0:3], v52 offset:3840
	s_clause 0x3
	buffer_load_dword v47, off, s[36:39], 0 offset:476
	buffer_load_dword v48, off, s[36:39], 0 offset:480
	;; [unrolled: 1-line block ×4, first 2 shown]
	s_waitcnt vmcnt(6)
	v_mad_u64_u32 v[24:25], null, s2, v46, 0
	s_waitcnt vmcnt(4)
	v_mad_u64_u32 v[26:27], null, s0, v51, 0
	v_fma_f64 v[8:9], v[30:31], v[8:9], v[20:21]
	v_fma_f64 v[10:11], v[30:31], v[10:11], -v[22:23]
	ds_read_b128 v[30:33], v52 offset:13440
	s_clause 0x3
	buffer_load_dword v34, off, s[36:39], 0 offset:444
	buffer_load_dword v35, off, s[36:39], 0 offset:448
	;; [unrolled: 1-line block ×4, first 2 shown]
	v_mov_b32_e32 v20, v25
	v_mov_b32_e32 v25, v27
	s_waitcnt vmcnt(4) lgkmcnt(3)
	v_mul_f64 v[38:39], v[49:50], v[12:13]
	v_mul_f64 v[28:29], v[49:50], v[14:15]
	s_waitcnt vmcnt(0) lgkmcnt(2)
	v_mul_f64 v[40:41], v[36:37], v[18:19]
	v_mov_b32_e32 v45, v35
	v_mov_b32_e32 v44, v34
	v_mad_u64_u32 v[34:35], null, s3, v46, v[20:21]
	v_mul_f64 v[42:43], v[36:37], v[16:17]
	v_mad_u64_u32 v[35:36], null, s1, v51, v[25:26]
	v_mov_b32_e32 v46, v47
	v_mov_b32_e32 v47, v48
	s_mov_b32 s2, 0x789abcdf
	s_mov_b32 s3, 0x3f323456
	ds_read_b128 v[20:23], v52 offset:17280
	v_mov_b32_e32 v25, v34
	v_mov_b32_e32 v27, v35
	v_mul_f64 v[34:35], v[8:9], s[2:3]
	v_mul_f64 v[36:37], v[10:11], s[2:3]
	ds_read_b128 v[8:11], v52 offset:15360
	v_fma_f64 v[14:15], v[46:47], v[14:15], -v[38:39]
	v_fma_f64 v[12:13], v[46:47], v[12:13], v[28:29]
	v_lshlrev_b64 v[24:25], 4, v[24:25]
	v_lshlrev_b64 v[26:27], 4, v[26:27]
	v_fma_f64 v[16:17], v[44:45], v[16:17], v[40:41]
	s_clause 0x3
	buffer_load_dword v38, off, s[36:39], 0 offset:428
	buffer_load_dword v39, off, s[36:39], 0 offset:432
	;; [unrolled: 1-line block ×4, first 2 shown]
	v_add_co_u32 v28, vcc_lo, s4, v24
	v_fma_f64 v[18:19], v[44:45], v[18:19], -v[42:43]
	v_add_co_ci_u32_e32 v29, vcc_lo, s5, v25, vcc_lo
	v_add_co_u32 v73, vcc_lo, v28, v26
	s_mul_i32 s4, s1, 0x1680
	v_add_co_ci_u32_e32 v74, vcc_lo, v29, v27, vcc_lo
	s_mul_hi_u32 s5, s0, 0x1680
	s_add_i32 s4, s5, s4
	s_mul_i32 s5, s0, 0x1680
	v_mul_f64 v[55:56], v[14:15], s[2:3]
	v_mul_f64 v[53:54], v[12:13], s[2:3]
	v_add_co_u32 v89, vcc_lo, v73, s5
	v_mul_f64 v[61:62], v[16:17], s[2:3]
	v_add_co_ci_u32_e32 v90, vcc_lo, s4, v74, vcc_lo
	v_add_co_u32 v91, vcc_lo, v89, s5
	v_mul_f64 v[63:64], v[18:19], s[2:3]
	v_add_co_ci_u32_e32 v92, vcc_lo, s4, v90, vcc_lo
	s_waitcnt vmcnt(2)
	v_mov_b32_e32 v72, v39
	s_waitcnt vmcnt(0) lgkmcnt(1)
	v_mul_f64 v[50:51], v[40:41], v[22:23]
	v_mul_f64 v[69:70], v[40:41], v[20:21]
	v_mov_b32_e32 v71, v38
	ds_read_b128 v[38:41], v52 offset:23040
	ds_read_b128 v[42:45], v52 offset:28800
	;; [unrolled: 1-line block ×5, first 2 shown]
	s_clause 0x3
	buffer_load_dword v12, off, s[36:39], 0 offset:396
	buffer_load_dword v13, off, s[36:39], 0 offset:400
	;; [unrolled: 1-line block ×4, first 2 shown]
	ds_read_b128 v[16:19], v52 offset:26880
	v_fma_f64 v[20:21], v[71:72], v[20:21], v[50:51]
	v_fma_f64 v[22:23], v[71:72], v[22:23], -v[69:70]
	s_waitcnt vmcnt(2)
	v_mov_b32_e32 v98, v13
	s_waitcnt vmcnt(0) lgkmcnt(5)
	v_mul_f64 v[75:76], v[14:15], v[40:41]
	v_mul_f64 v[77:78], v[14:15], v[38:39]
	v_mov_b32_e32 v97, v12
	s_clause 0x3
	buffer_load_dword v12, off, s[36:39], 0 offset:364
	buffer_load_dword v13, off, s[36:39], 0 offset:368
	;; [unrolled: 1-line block ×4, first 2 shown]
	ds_read_b128 v[24:27], v52 offset:36480
	v_fma_f64 v[75:76], v[97:98], v[38:39], v[75:76]
	v_fma_f64 v[77:78], v[97:98], v[40:41], -v[77:78]
	s_waitcnt vmcnt(2)
	v_mov_b32_e32 v96, v13
	s_waitcnt vmcnt(0) lgkmcnt(5)
	v_mul_f64 v[50:51], v[14:15], v[44:45]
	v_mul_f64 v[79:80], v[14:15], v[42:43]
	v_mov_b32_e32 v95, v12
	s_clause 0x3
	buffer_load_dword v12, off, s[36:39], 0 offset:380
	buffer_load_dword v13, off, s[36:39], 0 offset:384
	buffer_load_dword v14, off, s[36:39], 0 offset:388
	buffer_load_dword v15, off, s[36:39], 0 offset:392
	s_waitcnt vmcnt(2)
	v_mov_b32_e32 v94, v13
	s_waitcnt vmcnt(0) lgkmcnt(4)
	v_mul_f64 v[81:82], v[14:15], v[48:49]
	v_mul_f64 v[83:84], v[14:15], v[46:47]
	v_mov_b32_e32 v93, v12
	ds_read_b128 v[12:15], v52 offset:38400
	s_clause 0x3
	buffer_load_dword v69, off, s[36:39], 0 offset:412
	buffer_load_dword v70, off, s[36:39], 0 offset:416
	;; [unrolled: 1-line block ×4, first 2 shown]
	s_waitcnt vmcnt(2)
	v_mov_b32_e32 v100, v70
	s_waitcnt vmcnt(0) lgkmcnt(4)
	v_mul_f64 v[85:86], v[71:72], v[59:60]
	v_mul_f64 v[87:88], v[71:72], v[57:58]
	v_mov_b32_e32 v99, v69
	ds_read_b128 v[69:72], v52 offset:46080
	global_store_dwordx4 v[73:74], v[34:37], off
	global_store_dwordx4 v[89:90], v[53:56], off
	;; [unrolled: 1-line block ×3, first 2 shown]
	v_mul_f64 v[34:35], v[20:21], s[2:3]
	v_fma_f64 v[20:21], v[95:96], v[42:43], v[50:51]
	v_fma_f64 v[50:51], v[95:96], v[44:45], -v[79:80]
	ds_read_b128 v[38:41], v52 offset:48000
	s_clause 0x3
	buffer_load_dword v42, off, s[36:39], 0 offset:348
	buffer_load_dword v43, off, s[36:39], 0 offset:352
	;; [unrolled: 1-line block ×4, first 2 shown]
	v_mul_f64 v[36:37], v[22:23], s[2:3]
	v_fma_f64 v[22:23], v[93:94], v[46:47], v[81:82]
	v_fma_f64 v[63:64], v[93:94], v[48:49], -v[83:84]
	ds_read_b128 v[53:56], v52 offset:7680
	v_mul_f64 v[46:47], v[75:76], s[2:3]
	v_mul_f64 v[48:49], v[77:78], s[2:3]
	v_fma_f64 v[73:74], v[99:100], v[57:58], v[85:86]
	v_fma_f64 v[79:80], v[99:100], v[59:60], -v[87:88]
	v_add_co_u32 v85, vcc_lo, v91, s5
	v_add_co_ci_u32_e32 v86, vcc_lo, s4, v92, vcc_lo
	v_mul_f64 v[57:58], v[20:21], s[2:3]
	v_mul_f64 v[59:60], v[50:51], s[2:3]
	v_add_co_u32 v87, vcc_lo, v85, s5
	v_add_co_ci_u32_e32 v88, vcc_lo, s4, v86, vcc_lo
	v_mul_f64 v[61:62], v[22:23], s[2:3]
	ds_read_b128 v[20:23], v52 offset:49920
	v_mul_f64 v[63:64], v[63:64], s[2:3]
	v_add_co_u32 v50, vcc_lo, v87, s5
	v_add_co_ci_u32_e32 v51, vcc_lo, s4, v88, vcc_lo
	v_add_co_u32 v105, vcc_lo, v50, s5
	v_mul_f64 v[73:74], v[73:74], s[2:3]
	v_mul_f64 v[75:76], v[79:80], s[2:3]
	v_add_co_ci_u32_e32 v106, vcc_lo, s4, v51, vcc_lo
	v_add_co_u32 v107, vcc_lo, v105, s5
	v_add_co_ci_u32_e32 v108, vcc_lo, s4, v106, vcc_lo
	s_waitcnt vmcnt(0) lgkmcnt(3)
	v_mul_f64 v[81:82], v[44:45], v[71:72]
	v_mul_f64 v[83:84], v[44:45], v[69:70]
	v_mov_b32_e32 v94, v43
	v_mov_b32_e32 v93, v42
	ds_read_b128 v[42:45], v52 offset:51840
	s_clause 0x3
	buffer_load_dword v115, off, s[36:39], 0 offset:332
	buffer_load_dword v116, off, s[36:39], 0 offset:336
	;; [unrolled: 1-line block ×4, first 2 shown]
	v_fma_f64 v[81:82], v[93:94], v[69:70], v[81:82]
	v_fma_f64 v[83:84], v[93:94], v[71:72], -v[83:84]
	s_clause 0x3
	buffer_load_dword v69, off, s[36:39], 0 offset:284
	buffer_load_dword v70, off, s[36:39], 0 offset:288
	;; [unrolled: 1-line block ×4, first 2 shown]
	s_waitcnt vmcnt(4) lgkmcnt(0)
	v_mul_f64 v[89:90], v[117:118], v[44:45]
	v_mul_f64 v[91:92], v[117:118], v[42:43]
	s_waitcnt vmcnt(2)
	v_mov_b32_e32 v110, v70
	s_waitcnt vmcnt(0)
	v_mul_f64 v[93:94], v[71:72], v[6:7]
	v_mul_f64 v[95:96], v[71:72], v[4:5]
	v_mov_b32_e32 v109, v69
	ds_read_b128 v[69:72], v52 offset:9600
	s_clause 0x3
	buffer_load_dword v77, off, s[36:39], 0 offset:300
	buffer_load_dword v78, off, s[36:39], 0 offset:304
	;; [unrolled: 1-line block ×4, first 2 shown]
	v_fma_f64 v[42:43], v[115:116], v[42:43], v[89:90]
	v_fma_f64 v[44:45], v[115:116], v[44:45], -v[91:92]
	s_waitcnt vmcnt(2)
	v_mov_b32_e32 v114, v78
	s_waitcnt vmcnt(0)
	v_mul_f64 v[97:98], v[79:80], v[55:56]
	v_mul_f64 v[99:100], v[79:80], v[53:54]
	v_mov_b32_e32 v113, v77
	s_clause 0x3
	buffer_load_dword v77, off, s[36:39], 0 offset:316
	buffer_load_dword v78, off, s[36:39], 0 offset:320
	;; [unrolled: 1-line block ×4, first 2 shown]
	v_fma_f64 v[53:54], v[113:114], v[53:54], v[97:98]
	v_fma_f64 v[55:56], v[113:114], v[55:56], -v[99:100]
	v_mul_f64 v[53:54], v[53:54], s[2:3]
	v_mul_f64 v[55:56], v[55:56], s[2:3]
	s_waitcnt vmcnt(0)
	v_mul_f64 v[101:102], v[79:80], v[32:33]
	v_mul_f64 v[103:104], v[79:80], v[30:31]
	v_mov_b32_e32 v112, v78
	v_mov_b32_e32 v111, v77
	ds_read_b128 v[77:80], v52 offset:19200
	global_store_dwordx4 v[85:86], v[34:37], off
	global_store_dwordx4 v[87:88], v[46:49], off
	;; [unrolled: 1-line block ×5, first 2 shown]
	v_fma_f64 v[46:47], v[109:110], v[4:5], v[93:94]
	v_mul_f64 v[36:37], v[83:84], s[2:3]
	v_fma_f64 v[50:51], v[109:110], v[6:7], -v[95:96]
	ds_read_b128 v[4:7], v52 offset:21120
	v_mul_f64 v[34:35], v[81:82], s[2:3]
	v_add_co_u32 v73, vcc_lo, v107, s5
	v_add_co_ci_u32_e32 v74, vcc_lo, s4, v108, vcc_lo
	v_fma_f64 v[57:58], v[111:112], v[30:31], v[101:102]
	v_fma_f64 v[59:60], v[111:112], v[32:33], -v[103:104]
	s_clause 0x7
	buffer_load_dword v30, off, s[36:39], 0 offset:252
	buffer_load_dword v31, off, s[36:39], 0 offset:256
	buffer_load_dword v32, off, s[36:39], 0 offset:260
	buffer_load_dword v33, off, s[36:39], 0 offset:264
	buffer_load_dword v83, off, s[36:39], 0 offset:268
	buffer_load_dword v84, off, s[36:39], 0 offset:272
	buffer_load_dword v85, off, s[36:39], 0 offset:276
	buffer_load_dword v86, off, s[36:39], 0 offset:280
	v_mul_f64 v[57:58], v[57:58], s[2:3]
	v_mul_f64 v[59:60], v[59:60], s[2:3]
	s_waitcnt vmcnt(4) lgkmcnt(1)
	v_mul_f64 v[61:62], v[32:33], v[79:80]
	v_mul_f64 v[63:64], v[32:33], v[77:78]
	s_waitcnt vmcnt(0)
	v_mul_f64 v[75:76], v[85:86], v[67:68]
	v_mul_f64 v[81:82], v[85:86], v[65:66]
	v_mov_b32_e32 v90, v31
	v_mov_b32_e32 v88, v84
	v_mov_b32_e32 v89, v30
	v_mov_b32_e32 v87, v83
	v_mul_f64 v[30:31], v[42:43], s[2:3]
	v_mul_f64 v[32:33], v[44:45], s[2:3]
	;; [unrolled: 1-line block ×3, first 2 shown]
	ds_read_b128 v[46:49], v52 offset:30720
	v_mul_f64 v[44:45], v[50:51], s[2:3]
	v_add_co_u32 v83, vcc_lo, v73, s5
	v_add_co_ci_u32_e32 v84, vcc_lo, s4, v74, vcc_lo
	v_mad_u64_u32 v[85:86], null, 0xffff3d00, s0, v[83:84]
	v_fma_f64 v[50:51], v[89:90], v[77:78], v[61:62]
	v_fma_f64 v[77:78], v[89:90], v[79:80], -v[63:64]
	ds_read_b128 v[61:64], v52 offset:32640
	v_fma_f64 v[75:76], v[87:88], v[65:66], v[75:76]
	v_fma_f64 v[81:82], v[87:88], v[67:68], -v[81:82]
	s_clause 0x3
	buffer_load_dword v65, off, s[36:39], 0 offset:12
	buffer_load_dword v66, off, s[36:39], 0 offset:16
	;; [unrolled: 1-line block ×4, first 2 shown]
	v_add_nc_u32_e32 v86, s6, v86
	v_add_co_u32 v79, vcc_lo, v85, s5
	v_add_co_ci_u32_e32 v80, vcc_lo, s4, v86, vcc_lo
	v_add_co_u32 v91, vcc_lo, v79, s5
	v_add_co_ci_u32_e32 v92, vcc_lo, s4, v80, vcc_lo
	s_waitcnt vmcnt(2)
	v_mov_b32_e32 v94, v66
	s_waitcnt vmcnt(0) lgkmcnt(1)
	v_mul_f64 v[87:88], v[67:68], v[48:49]
	v_mul_f64 v[89:90], v[67:68], v[46:47]
	v_mov_b32_e32 v93, v65
	ds_read_b128 v[65:68], v52 offset:42240
	global_store_dwordx4 v[73:74], v[34:37], off
	global_store_dwordx4 v[83:84], v[30:33], off
	;; [unrolled: 1-line block ×5, first 2 shown]
	ds_read_b128 v[34:37], v52 offset:53760
	v_mul_f64 v[32:33], v[77:78], s[2:3]
	s_clause 0x3
	buffer_load_dword v42, off, s[36:39], 0 offset:204
	buffer_load_dword v43, off, s[36:39], 0 offset:208
	;; [unrolled: 1-line block ×4, first 2 shown]
	ds_read_b128 v[53:56], v52 offset:44160
	s_clause 0x4
	buffer_load_dword v77, off, s[36:39], 0 offset:220
	buffer_load_dword v78, off, s[36:39], 0 offset:224
	;; [unrolled: 1-line block ×4, first 2 shown]
	buffer_load_dword v95, off, s[36:39], 0
	v_add_co_u32 v59, vcc_lo, v91, s5
	v_add_co_ci_u32_e32 v60, vcc_lo, s4, v92, vcc_lo
	v_mul_f64 v[30:31], v[50:51], s[2:3]
	s_waitcnt vmcnt(7)
	v_mov_b32_e32 v104, v43
	v_mov_b32_e32 v103, v42
	s_waitcnt vmcnt(3)
	v_mov_b32_e32 v102, v78
	v_mul_f64 v[42:43], v[75:76], s[2:3]
	s_waitcnt vmcnt(1) lgkmcnt(2)
	v_mul_f64 v[73:74], v[79:80], v[67:68]
	v_mul_f64 v[75:76], v[79:80], v[65:66]
	v_mov_b32_e32 v101, v77
	v_fma_f64 v[77:78], v[93:94], v[46:47], v[87:88]
	v_fma_f64 v[79:80], v[93:94], v[48:49], -v[89:90]
	s_clause 0x3
	buffer_load_dword v46, off, s[36:39], 0 offset:188
	buffer_load_dword v47, off, s[36:39], 0 offset:192
	;; [unrolled: 1-line block ×4, first 2 shown]
	v_mul_f64 v[50:51], v[44:45], v[26:27]
	v_mul_f64 v[57:58], v[44:45], v[24:25]
	;; [unrolled: 1-line block ×3, first 2 shown]
	s_waitcnt vmcnt(4)
	v_mad_u64_u32 v[81:82], null, s0, v95, 0
	v_fma_f64 v[65:66], v[101:102], v[65:66], v[73:74]
	v_fma_f64 v[67:68], v[101:102], v[67:68], -v[75:76]
	v_fma_f64 v[50:51], v[103:104], v[24:25], v[50:51]
	v_fma_f64 v[57:58], v[103:104], v[26:27], -v[57:58]
	v_mul_f64 v[26:27], v[79:80], s[2:3]
	v_mul_f64 v[24:25], v[77:78], s[2:3]
	s_waitcnt vmcnt(2)
	v_mov_b32_e32 v100, v47
	s_waitcnt vmcnt(0)
	v_mul_f64 v[83:84], v[48:49], v[40:41]
	v_mul_f64 v[85:86], v[48:49], v[38:39]
	v_mov_b32_e32 v99, v46
	ds_read_b128 v[46:49], v52 offset:55680
	s_clause 0x3
	buffer_load_dword v91, off, s[36:39], 0 offset:236
	buffer_load_dword v92, off, s[36:39], 0 offset:240
	;; [unrolled: 1-line block ×4, first 2 shown]
	v_mov_b32_e32 v52, v82
	s_waitcnt lgkmcnt(1)
	v_mad_u64_u32 v[95:96], null, s1, v95, v[52:53]
	v_mov_b32_e32 v82, v95
	v_fma_f64 v[38:39], v[99:100], v[38:39], v[83:84]
	v_fma_f64 v[40:41], v[99:100], v[40:41], -v[85:86]
	v_lshlrev_b64 v[81:82], 4, v[81:82]
	v_mul_f64 v[38:39], v[38:39], s[2:3]
	v_mul_f64 v[40:41], v[40:41], s[2:3]
	s_waitcnt vmcnt(2)
	v_mov_b32_e32 v98, v92
	v_mov_b32_e32 v97, v91
	v_add_co_u32 v91, vcc_lo, v59, s5
	v_add_co_ci_u32_e32 v92, vcc_lo, s4, v60, vcc_lo
	s_waitcnt vmcnt(0)
	v_mul_f64 v[87:88], v[93:94], v[36:37]
	v_mul_f64 v[89:90], v[93:94], v[34:35]
	global_store_dwordx4 v[59:60], v[30:33], off
	global_store_dwordx4 v[91:92], v[42:45], off
	v_mad_u64_u32 v[93:94], null, 0x2d00, s0, v[91:92]
	v_mov_b32_e32 v30, v94
	v_mad_u64_u32 v[42:43], null, 0x2d00, s1, v[30:31]
	s_clause 0x3
	buffer_load_dword v30, off, s[36:39], 0 offset:28
	buffer_load_dword v31, off, s[36:39], 0 offset:32
	;; [unrolled: 1-line block ×4, first 2 shown]
	v_fma_f64 v[43:44], v[97:98], v[34:35], v[87:88]
	v_mul_f64 v[34:35], v[65:66], s[2:3]
	v_fma_f64 v[59:60], v[97:98], v[36:37], -v[89:90]
	v_mov_b32_e32 v94, v42
	v_mul_f64 v[36:37], v[67:68], s[2:3]
	v_mul_f64 v[42:43], v[43:44], s[2:3]
	v_mul_f64 v[44:45], v[59:60], s[2:3]
	s_waitcnt vmcnt(2)
	v_mov_b32_e32 v86, v31
	s_waitcnt vmcnt(0)
	v_mul_f64 v[73:74], v[32:33], v[2:3]
	v_mul_f64 v[75:76], v[32:33], v[0:1]
	v_mov_b32_e32 v85, v30
	s_clause 0x3
	buffer_load_dword v30, off, s[36:39], 0 offset:44
	buffer_load_dword v31, off, s[36:39], 0 offset:48
	;; [unrolled: 1-line block ×4, first 2 shown]
	v_fma_f64 v[0:1], v[85:86], v[0:1], v[73:74]
	v_fma_f64 v[2:3], v[85:86], v[2:3], -v[75:76]
	v_mul_f64 v[0:1], v[0:1], s[2:3]
	v_mul_f64 v[2:3], v[2:3], s[2:3]
	s_waitcnt vmcnt(0)
	v_mul_f64 v[79:80], v[32:33], v[69:70]
	v_mov_b32_e32 v84, v31
	v_mov_b32_e32 v83, v30
	v_mul_f64 v[77:78], v[32:33], v[71:72]
	v_mul_f64 v[30:31], v[50:51], s[2:3]
	v_add_co_u32 v50, vcc_lo, v93, s5
	v_add_co_ci_u32_e32 v51, vcc_lo, s4, v94, vcc_lo
	v_mul_f64 v[32:33], v[57:58], s[2:3]
	v_add_co_u32 v57, vcc_lo, v50, s5
	v_add_co_ci_u32_e32 v58, vcc_lo, s4, v51, vcc_lo
	v_fma_f64 v[65:66], v[83:84], v[71:72], -v[79:80]
	s_clause 0x3
	buffer_load_dword v71, off, s[36:39], 0 offset:76
	buffer_load_dword v72, off, s[36:39], 0 offset:80
	;; [unrolled: 1-line block ×4, first 2 shown]
	v_fma_f64 v[59:60], v[83:84], v[69:70], v[77:78]
	s_waitcnt vmcnt(2)
	v_mov_b32_e32 v84, v72
	v_mov_b32_e32 v83, v71
	v_add_co_u32 v71, vcc_lo, v57, s5
	v_add_co_ci_u32_e32 v72, vcc_lo, s4, v58, vcc_lo
	v_add_co_u32 v28, vcc_lo, v28, v81
	v_add_co_ci_u32_e32 v29, vcc_lo, v29, v82, vcc_lo
	s_clause 0x3
	buffer_load_dword v79, off, s[36:39], 0 offset:92
	buffer_load_dword v80, off, s[36:39], 0 offset:96
	;; [unrolled: 1-line block ×4, first 2 shown]
	s_waitcnt vmcnt(4)
	v_mul_f64 v[67:68], v[73:74], v[10:11]
	v_mul_f64 v[69:70], v[73:74], v[8:9]
	global_store_dwordx4 v[28:29], v[24:27], off
	global_store_dwordx4 v[93:94], v[30:33], off
	;; [unrolled: 1-line block ×5, first 2 shown]
	s_clause 0xb
	buffer_load_dword v32, off, s[36:39], 0 offset:60
	buffer_load_dword v33, off, s[36:39], 0 offset:64
	;; [unrolled: 1-line block ×12, first 2 shown]
	v_mul_f64 v[24:25], v[59:60], s[2:3]
	s_clause 0x3
	buffer_load_dword v57, off, s[36:39], 0 offset:140
	buffer_load_dword v58, off, s[36:39], 0 offset:144
	buffer_load_dword v59, off, s[36:39], 0 offset:148
	buffer_load_dword v60, off, s[36:39], 0 offset:152
	v_mul_f64 v[26:27], v[65:66], s[2:3]
	v_mad_u64_u32 v[73:74], null, 0xffff3d00, s0, v[71:72]
	v_add_nc_u32_e32 v74, s6, v74
	v_fma_f64 v[8:9], v[83:84], v[8:9], v[67:68]
	v_fma_f64 v[10:11], v[83:84], v[10:11], -v[69:70]
	s_waitcnt vmcnt(16)
	v_mul_f64 v[75:76], v[81:82], v[6:7]
	v_mul_f64 v[77:78], v[81:82], v[4:5]
	s_waitcnt vmcnt(12)
	v_mul_f64 v[28:29], v[34:35], v[18:19]
	v_mul_f64 v[30:31], v[34:35], v[16:17]
	;; [unrolled: 3-line block ×3, first 2 shown]
	v_mov_b32_e32 v70, v39
	v_mov_b32_e32 v69, v38
	s_waitcnt vmcnt(4)
	v_mul_f64 v[38:39], v[44:45], v[14:15]
	v_mul_f64 v[40:41], v[44:45], v[12:13]
	v_mov_b32_e32 v68, v43
	v_mov_b32_e32 v67, v42
	s_waitcnt vmcnt(0)
	v_mul_f64 v[42:43], v[59:60], v[55:56]
	v_mul_f64 v[44:45], v[59:60], v[53:54]
	v_mov_b32_e32 v72, v33
	v_mov_b32_e32 v71, v32
	v_add_co_u32 v32, vcc_lo, v73, s5
	v_add_co_ci_u32_e32 v33, vcc_lo, s4, v74, vcc_lo
	v_fma_f64 v[4:5], v[79:80], v[4:5], v[75:76]
	v_fma_f64 v[6:7], v[79:80], v[6:7], -v[77:78]
	s_clause 0x7
	buffer_load_dword v75, off, s[36:39], 0 offset:156
	buffer_load_dword v76, off, s[36:39], 0 offset:160
	;; [unrolled: 1-line block ×8, first 2 shown]
	v_mov_b32_e32 v80, v58
	v_mov_b32_e32 v79, v57
	global_store_dwordx4 v[73:74], v[0:3], off
	global_store_dwordx4 v[32:33], v[24:27], off
	v_mul_f64 v[0:1], v[8:9], s[2:3]
	v_mul_f64 v[2:3], v[10:11], s[2:3]
	v_fma_f64 v[8:9], v[71:72], v[16:17], v[28:29]
	v_fma_f64 v[10:11], v[71:72], v[18:19], -v[30:31]
	v_fma_f64 v[16:17], v[69:70], v[61:62], v[34:35]
	v_fma_f64 v[18:19], v[69:70], v[63:64], -v[36:37]
	;; [unrolled: 2-line block ×4, first 2 shown]
	v_add_co_u32 v32, vcc_lo, v32, s5
	v_add_co_ci_u32_e32 v33, vcc_lo, s4, v33, vcc_lo
	v_add_co_u32 v42, vcc_lo, v32, s5
	v_add_co_ci_u32_e32 v43, vcc_lo, s4, v33, vcc_lo
	v_mul_f64 v[4:5], v[4:5], s[2:3]
	v_add_co_u32 v44, vcc_lo, v42, s5
	v_add_co_ci_u32_e32 v45, vcc_lo, s4, v43, vcc_lo
	v_mul_f64 v[6:7], v[6:7], s[2:3]
	v_mul_f64 v[8:9], v[8:9], s[2:3]
	;; [unrolled: 1-line block ×7, first 2 shown]
	global_store_dwordx4 v[32:33], v[0:3], off
	global_store_dwordx4 v[42:43], v[4:7], off
	;; [unrolled: 1-line block ×3, first 2 shown]
	s_waitcnt vmcnt(4)
	v_mul_f64 v[50:51], v[77:78], v[22:23]
	v_mul_f64 v[57:58], v[77:78], v[20:21]
	s_waitcnt vmcnt(0) lgkmcnt(0)
	v_mul_f64 v[59:60], v[83:84], v[48:49]
	v_mul_f64 v[65:66], v[83:84], v[46:47]
	v_fma_f64 v[34:35], v[75:76], v[20:21], v[50:51]
	v_fma_f64 v[36:37], v[75:76], v[22:23], -v[57:58]
	v_fma_f64 v[38:39], v[81:82], v[46:47], v[59:60]
	v_fma_f64 v[40:41], v[81:82], v[48:49], -v[65:66]
	v_add_co_u32 v46, vcc_lo, v44, s5
	v_add_co_ci_u32_e32 v47, vcc_lo, s4, v45, vcc_lo
	v_mul_f64 v[20:21], v[28:29], s[2:3]
	v_mul_f64 v[22:23], v[30:31], s[2:3]
	;; [unrolled: 1-line block ×6, first 2 shown]
	v_add_co_u32 v34, vcc_lo, v46, s5
	v_add_co_ci_u32_e32 v35, vcc_lo, s4, v47, vcc_lo
	v_add_co_u32 v0, vcc_lo, v34, s5
	v_add_co_ci_u32_e32 v1, vcc_lo, s4, v35, vcc_lo
	;; [unrolled: 2-line block ×4, first 2 shown]
	global_store_dwordx4 v[46:47], v[12:15], off
	global_store_dwordx4 v[34:35], v[16:19], off
	;; [unrolled: 1-line block ×5, first 2 shown]
.LBB0_2:
	s_endpgm
	.section	.rodata,"a",@progbits
	.p2align	6, 0x0
	.amdhsa_kernel bluestein_single_back_len3600_dim1_dp_op_CI_CI
		.amdhsa_group_segment_fixed_size 57600
		.amdhsa_private_segment_fixed_size 1448
		.amdhsa_kernarg_size 104
		.amdhsa_user_sgpr_count 6
		.amdhsa_user_sgpr_private_segment_buffer 1
		.amdhsa_user_sgpr_dispatch_ptr 0
		.amdhsa_user_sgpr_queue_ptr 0
		.amdhsa_user_sgpr_kernarg_segment_ptr 1
		.amdhsa_user_sgpr_dispatch_id 0
		.amdhsa_user_sgpr_flat_scratch_init 0
		.amdhsa_user_sgpr_private_segment_size 0
		.amdhsa_wavefront_size32 1
		.amdhsa_uses_dynamic_stack 0
		.amdhsa_system_sgpr_private_segment_wavefront_offset 1
		.amdhsa_system_sgpr_workgroup_id_x 1
		.amdhsa_system_sgpr_workgroup_id_y 0
		.amdhsa_system_sgpr_workgroup_id_z 0
		.amdhsa_system_sgpr_workgroup_info 0
		.amdhsa_system_vgpr_workitem_id 0
		.amdhsa_next_free_vgpr 256
		.amdhsa_next_free_sgpr 40
		.amdhsa_reserve_vcc 1
		.amdhsa_reserve_flat_scratch 0
		.amdhsa_float_round_mode_32 0
		.amdhsa_float_round_mode_16_64 0
		.amdhsa_float_denorm_mode_32 3
		.amdhsa_float_denorm_mode_16_64 3
		.amdhsa_dx10_clamp 1
		.amdhsa_ieee_mode 1
		.amdhsa_fp16_overflow 0
		.amdhsa_workgroup_processor_mode 1
		.amdhsa_memory_ordered 1
		.amdhsa_forward_progress 0
		.amdhsa_shared_vgpr_count 0
		.amdhsa_exception_fp_ieee_invalid_op 0
		.amdhsa_exception_fp_denorm_src 0
		.amdhsa_exception_fp_ieee_div_zero 0
		.amdhsa_exception_fp_ieee_overflow 0
		.amdhsa_exception_fp_ieee_underflow 0
		.amdhsa_exception_fp_ieee_inexact 0
		.amdhsa_exception_int_div_zero 0
	.end_amdhsa_kernel
	.text
.Lfunc_end0:
	.size	bluestein_single_back_len3600_dim1_dp_op_CI_CI, .Lfunc_end0-bluestein_single_back_len3600_dim1_dp_op_CI_CI
                                        ; -- End function
	.section	.AMDGPU.csdata,"",@progbits
; Kernel info:
; codeLenInByte = 47984
; NumSgprs: 42
; NumVgprs: 256
; ScratchSize: 1448
; MemoryBound: 0
; FloatMode: 240
; IeeeMode: 1
; LDSByteSize: 57600 bytes/workgroup (compile time only)
; SGPRBlocks: 5
; VGPRBlocks: 31
; NumSGPRsForWavesPerEU: 42
; NumVGPRsForWavesPerEU: 256
; Occupancy: 2
; WaveLimiterHint : 1
; COMPUTE_PGM_RSRC2:SCRATCH_EN: 1
; COMPUTE_PGM_RSRC2:USER_SGPR: 6
; COMPUTE_PGM_RSRC2:TRAP_HANDLER: 0
; COMPUTE_PGM_RSRC2:TGID_X_EN: 1
; COMPUTE_PGM_RSRC2:TGID_Y_EN: 0
; COMPUTE_PGM_RSRC2:TGID_Z_EN: 0
; COMPUTE_PGM_RSRC2:TIDIG_COMP_CNT: 0
	.text
	.p2alignl 6, 3214868480
	.fill 48, 4, 3214868480
	.type	__hip_cuid_82cd940d08b048c1,@object ; @__hip_cuid_82cd940d08b048c1
	.section	.bss,"aw",@nobits
	.globl	__hip_cuid_82cd940d08b048c1
__hip_cuid_82cd940d08b048c1:
	.byte	0                               ; 0x0
	.size	__hip_cuid_82cd940d08b048c1, 1

	.ident	"AMD clang version 19.0.0git (https://github.com/RadeonOpenCompute/llvm-project roc-6.4.0 25133 c7fe45cf4b819c5991fe208aaa96edf142730f1d)"
	.section	".note.GNU-stack","",@progbits
	.addrsig
	.addrsig_sym __hip_cuid_82cd940d08b048c1
	.amdgpu_metadata
---
amdhsa.kernels:
  - .args:
      - .actual_access:  read_only
        .address_space:  global
        .offset:         0
        .size:           8
        .value_kind:     global_buffer
      - .actual_access:  read_only
        .address_space:  global
        .offset:         8
        .size:           8
        .value_kind:     global_buffer
      - .actual_access:  read_only
        .address_space:  global
        .offset:         16
        .size:           8
        .value_kind:     global_buffer
      - .actual_access:  read_only
        .address_space:  global
        .offset:         24
        .size:           8
        .value_kind:     global_buffer
      - .actual_access:  read_only
        .address_space:  global
        .offset:         32
        .size:           8
        .value_kind:     global_buffer
      - .offset:         40
        .size:           8
        .value_kind:     by_value
      - .address_space:  global
        .offset:         48
        .size:           8
        .value_kind:     global_buffer
      - .address_space:  global
        .offset:         56
        .size:           8
        .value_kind:     global_buffer
      - .address_space:  global
        .offset:         64
        .size:           8
        .value_kind:     global_buffer
      - .address_space:  global
        .offset:         72
        .size:           8
        .value_kind:     global_buffer
      - .offset:         80
        .size:           4
        .value_kind:     by_value
      - .address_space:  global
        .offset:         88
        .size:           8
        .value_kind:     global_buffer
      - .address_space:  global
        .offset:         96
        .size:           8
        .value_kind:     global_buffer
    .group_segment_fixed_size: 57600
    .kernarg_segment_align: 8
    .kernarg_segment_size: 104
    .language:       OpenCL C
    .language_version:
      - 2
      - 0
    .max_flat_workgroup_size: 120
    .name:           bluestein_single_back_len3600_dim1_dp_op_CI_CI
    .private_segment_fixed_size: 1448
    .sgpr_count:     42
    .sgpr_spill_count: 0
    .symbol:         bluestein_single_back_len3600_dim1_dp_op_CI_CI.kd
    .uniform_work_group_size: 1
    .uses_dynamic_stack: false
    .vgpr_count:     256
    .vgpr_spill_count: 361
    .wavefront_size: 32
    .workgroup_processor_mode: 1
amdhsa.target:   amdgcn-amd-amdhsa--gfx1030
amdhsa.version:
  - 1
  - 2
...

	.end_amdgpu_metadata
